;; amdgpu-corpus repo=ROCm/rocFFT kind=compiled arch=gfx1201 opt=O3
	.text
	.amdgcn_target "amdgcn-amd-amdhsa--gfx1201"
	.amdhsa_code_object_version 6
	.protected	fft_rtc_fwd_len408_factors_17_3_8_wgs_51_tpt_17_halfLds_dp_ip_CI_unitstride_sbrr_C2R_dirReg ; -- Begin function fft_rtc_fwd_len408_factors_17_3_8_wgs_51_tpt_17_halfLds_dp_ip_CI_unitstride_sbrr_C2R_dirReg
	.globl	fft_rtc_fwd_len408_factors_17_3_8_wgs_51_tpt_17_halfLds_dp_ip_CI_unitstride_sbrr_C2R_dirReg
	.p2align	8
	.type	fft_rtc_fwd_len408_factors_17_3_8_wgs_51_tpt_17_halfLds_dp_ip_CI_unitstride_sbrr_C2R_dirReg,@function
fft_rtc_fwd_len408_factors_17_3_8_wgs_51_tpt_17_halfLds_dp_ip_CI_unitstride_sbrr_C2R_dirReg: ; @fft_rtc_fwd_len408_factors_17_3_8_wgs_51_tpt_17_halfLds_dp_ip_CI_unitstride_sbrr_C2R_dirReg
; %bb.0:
	s_load_b128 s[4:7], s[0:1], 0x0
	v_mul_u32_u24_e32 v1, 0xf10, v0
	s_clause 0x1
	s_load_b64 s[8:9], s[0:1], 0x50
	s_load_b64 s[10:11], s[0:1], 0x18
	v_mov_b32_e32 v5, 0
	v_lshrrev_b32_e32 v1, 16, v1
	s_delay_alu instid0(VALU_DEP_1) | instskip(SKIP_3) | instid1(VALU_DEP_1)
	v_mad_co_u64_u32 v[1:2], null, ttmp9, 3, v[1:2]
	v_mov_b32_e32 v3, 0
	v_mov_b32_e32 v4, 0
	;; [unrolled: 1-line block ×4, first 2 shown]
	s_wait_kmcnt 0x0
	v_cmp_lt_u64_e64 s2, s[6:7], 2
	v_mov_b32_e32 v9, v1
	s_delay_alu instid0(VALU_DEP_2)
	s_and_b32 vcc_lo, exec_lo, s2
	s_cbranch_vccnz .LBB0_8
; %bb.1:
	s_load_b64 s[2:3], s[0:1], 0x10
	v_dual_mov_b32 v3, 0 :: v_dual_mov_b32 v8, v2
	v_dual_mov_b32 v4, 0 :: v_dual_mov_b32 v7, v1
	s_add_nc_u64 s[12:13], s[10:11], 8
	s_mov_b64 s[14:15], 1
	s_wait_kmcnt 0x0
	s_add_nc_u64 s[16:17], s[2:3], 8
	s_mov_b32 s3, 0
.LBB0_2:                                ; =>This Inner Loop Header: Depth=1
	s_load_b64 s[18:19], s[16:17], 0x0
                                        ; implicit-def: $vgpr9_vgpr10
	s_mov_b32 s2, exec_lo
	s_wait_kmcnt 0x0
	v_or_b32_e32 v6, s19, v8
	s_delay_alu instid0(VALU_DEP_1)
	v_cmpx_ne_u64_e32 0, v[5:6]
	s_wait_alu 0xfffe
	s_xor_b32 s20, exec_lo, s2
	s_cbranch_execz .LBB0_4
; %bb.3:                                ;   in Loop: Header=BB0_2 Depth=1
	s_cvt_f32_u32 s2, s18
	s_cvt_f32_u32 s21, s19
	s_sub_nc_u64 s[24:25], 0, s[18:19]
	s_wait_alu 0xfffe
	s_delay_alu instid0(SALU_CYCLE_1) | instskip(SKIP_1) | instid1(SALU_CYCLE_2)
	s_fmamk_f32 s2, s21, 0x4f800000, s2
	s_wait_alu 0xfffe
	v_s_rcp_f32 s2, s2
	s_delay_alu instid0(TRANS32_DEP_1) | instskip(SKIP_1) | instid1(SALU_CYCLE_2)
	s_mul_f32 s2, s2, 0x5f7ffffc
	s_wait_alu 0xfffe
	s_mul_f32 s21, s2, 0x2f800000
	s_wait_alu 0xfffe
	s_delay_alu instid0(SALU_CYCLE_2) | instskip(SKIP_1) | instid1(SALU_CYCLE_2)
	s_trunc_f32 s21, s21
	s_wait_alu 0xfffe
	s_fmamk_f32 s2, s21, 0xcf800000, s2
	s_cvt_u32_f32 s23, s21
	s_wait_alu 0xfffe
	s_delay_alu instid0(SALU_CYCLE_1) | instskip(SKIP_1) | instid1(SALU_CYCLE_2)
	s_cvt_u32_f32 s22, s2
	s_wait_alu 0xfffe
	s_mul_u64 s[26:27], s[24:25], s[22:23]
	s_wait_alu 0xfffe
	s_mul_hi_u32 s29, s22, s27
	s_mul_i32 s28, s22, s27
	s_mul_hi_u32 s2, s22, s26
	s_mul_i32 s30, s23, s26
	s_wait_alu 0xfffe
	s_add_nc_u64 s[28:29], s[2:3], s[28:29]
	s_mul_hi_u32 s21, s23, s26
	s_mul_hi_u32 s31, s23, s27
	s_add_co_u32 s2, s28, s30
	s_wait_alu 0xfffe
	s_add_co_ci_u32 s2, s29, s21
	s_mul_i32 s26, s23, s27
	s_add_co_ci_u32 s27, s31, 0
	s_wait_alu 0xfffe
	s_add_nc_u64 s[26:27], s[2:3], s[26:27]
	s_wait_alu 0xfffe
	v_add_co_u32 v2, s2, s22, s26
	s_delay_alu instid0(VALU_DEP_1) | instskip(SKIP_1) | instid1(VALU_DEP_1)
	s_cmp_lg_u32 s2, 0
	s_add_co_ci_u32 s23, s23, s27
	v_readfirstlane_b32 s22, v2
	s_wait_alu 0xfffe
	s_delay_alu instid0(VALU_DEP_1)
	s_mul_u64 s[24:25], s[24:25], s[22:23]
	s_wait_alu 0xfffe
	s_mul_hi_u32 s27, s22, s25
	s_mul_i32 s26, s22, s25
	s_mul_hi_u32 s2, s22, s24
	s_mul_i32 s28, s23, s24
	s_wait_alu 0xfffe
	s_add_nc_u64 s[26:27], s[2:3], s[26:27]
	s_mul_hi_u32 s21, s23, s24
	s_mul_hi_u32 s22, s23, s25
	s_wait_alu 0xfffe
	s_add_co_u32 s2, s26, s28
	s_add_co_ci_u32 s2, s27, s21
	s_mul_i32 s24, s23, s25
	s_add_co_ci_u32 s25, s22, 0
	s_wait_alu 0xfffe
	s_add_nc_u64 s[24:25], s[2:3], s[24:25]
	s_wait_alu 0xfffe
	v_add_co_u32 v2, s2, v2, s24
	s_delay_alu instid0(VALU_DEP_1) | instskip(SKIP_1) | instid1(VALU_DEP_1)
	s_cmp_lg_u32 s2, 0
	s_add_co_ci_u32 s2, s23, s25
	v_mul_hi_u32 v6, v7, v2
	s_wait_alu 0xfffe
	v_mad_co_u64_u32 v[9:10], null, v7, s2, 0
	v_mad_co_u64_u32 v[11:12], null, v8, v2, 0
	;; [unrolled: 1-line block ×3, first 2 shown]
	s_delay_alu instid0(VALU_DEP_3) | instskip(SKIP_1) | instid1(VALU_DEP_4)
	v_add_co_u32 v2, vcc_lo, v6, v9
	s_wait_alu 0xfffd
	v_add_co_ci_u32_e32 v6, vcc_lo, 0, v10, vcc_lo
	s_delay_alu instid0(VALU_DEP_2) | instskip(SKIP_1) | instid1(VALU_DEP_2)
	v_add_co_u32 v2, vcc_lo, v2, v11
	s_wait_alu 0xfffd
	v_add_co_ci_u32_e32 v2, vcc_lo, v6, v12, vcc_lo
	s_wait_alu 0xfffd
	v_add_co_ci_u32_e32 v6, vcc_lo, 0, v14, vcc_lo
	s_delay_alu instid0(VALU_DEP_2) | instskip(SKIP_1) | instid1(VALU_DEP_2)
	v_add_co_u32 v2, vcc_lo, v2, v13
	s_wait_alu 0xfffd
	v_add_co_ci_u32_e32 v6, vcc_lo, 0, v6, vcc_lo
	s_delay_alu instid0(VALU_DEP_2) | instskip(SKIP_1) | instid1(VALU_DEP_3)
	v_mul_lo_u32 v11, s19, v2
	v_mad_co_u64_u32 v[9:10], null, s18, v2, 0
	v_mul_lo_u32 v12, s18, v6
	s_delay_alu instid0(VALU_DEP_2) | instskip(NEXT) | instid1(VALU_DEP_2)
	v_sub_co_u32 v9, vcc_lo, v7, v9
	v_add3_u32 v10, v10, v12, v11
	s_delay_alu instid0(VALU_DEP_1) | instskip(SKIP_1) | instid1(VALU_DEP_1)
	v_sub_nc_u32_e32 v11, v8, v10
	s_wait_alu 0xfffd
	v_subrev_co_ci_u32_e64 v11, s2, s19, v11, vcc_lo
	v_add_co_u32 v12, s2, v2, 2
	s_wait_alu 0xf1ff
	v_add_co_ci_u32_e64 v13, s2, 0, v6, s2
	v_sub_co_u32 v14, s2, v9, s18
	v_sub_co_ci_u32_e32 v10, vcc_lo, v8, v10, vcc_lo
	s_wait_alu 0xf1ff
	v_subrev_co_ci_u32_e64 v11, s2, 0, v11, s2
	s_delay_alu instid0(VALU_DEP_3) | instskip(NEXT) | instid1(VALU_DEP_3)
	v_cmp_le_u32_e32 vcc_lo, s18, v14
	v_cmp_eq_u32_e64 s2, s19, v10
	s_wait_alu 0xfffd
	v_cndmask_b32_e64 v14, 0, -1, vcc_lo
	v_cmp_le_u32_e32 vcc_lo, s19, v11
	s_wait_alu 0xfffd
	v_cndmask_b32_e64 v15, 0, -1, vcc_lo
	v_cmp_le_u32_e32 vcc_lo, s18, v9
	;; [unrolled: 3-line block ×3, first 2 shown]
	s_wait_alu 0xfffd
	v_cndmask_b32_e64 v16, 0, -1, vcc_lo
	v_cmp_eq_u32_e32 vcc_lo, s19, v11
	s_wait_alu 0xf1ff
	s_delay_alu instid0(VALU_DEP_2)
	v_cndmask_b32_e64 v9, v16, v9, s2
	s_wait_alu 0xfffd
	v_cndmask_b32_e32 v11, v15, v14, vcc_lo
	v_add_co_u32 v14, vcc_lo, v2, 1
	s_wait_alu 0xfffd
	v_add_co_ci_u32_e32 v15, vcc_lo, 0, v6, vcc_lo
	s_delay_alu instid0(VALU_DEP_3) | instskip(SKIP_1) | instid1(VALU_DEP_2)
	v_cmp_ne_u32_e32 vcc_lo, 0, v11
	s_wait_alu 0xfffd
	v_dual_cndmask_b32 v10, v15, v13 :: v_dual_cndmask_b32 v11, v14, v12
	v_cmp_ne_u32_e32 vcc_lo, 0, v9
	s_wait_alu 0xfffd
	s_delay_alu instid0(VALU_DEP_2) | instskip(NEXT) | instid1(VALU_DEP_3)
	v_cndmask_b32_e32 v10, v6, v10, vcc_lo
	v_cndmask_b32_e32 v9, v2, v11, vcc_lo
.LBB0_4:                                ;   in Loop: Header=BB0_2 Depth=1
	s_wait_alu 0xfffe
	s_and_not1_saveexec_b32 s2, s20
	s_cbranch_execz .LBB0_6
; %bb.5:                                ;   in Loop: Header=BB0_2 Depth=1
	v_cvt_f32_u32_e32 v2, s18
	s_sub_co_i32 s20, 0, s18
	s_delay_alu instid0(VALU_DEP_1) | instskip(NEXT) | instid1(TRANS32_DEP_1)
	v_rcp_iflag_f32_e32 v2, v2
	v_mul_f32_e32 v2, 0x4f7ffffe, v2
	s_delay_alu instid0(VALU_DEP_1) | instskip(SKIP_1) | instid1(VALU_DEP_1)
	v_cvt_u32_f32_e32 v2, v2
	s_wait_alu 0xfffe
	v_mul_lo_u32 v6, s20, v2
	s_delay_alu instid0(VALU_DEP_1) | instskip(NEXT) | instid1(VALU_DEP_1)
	v_mul_hi_u32 v6, v2, v6
	v_add_nc_u32_e32 v2, v2, v6
	s_delay_alu instid0(VALU_DEP_1) | instskip(NEXT) | instid1(VALU_DEP_1)
	v_mul_hi_u32 v2, v7, v2
	v_mul_lo_u32 v6, v2, s18
	v_add_nc_u32_e32 v9, 1, v2
	s_delay_alu instid0(VALU_DEP_2) | instskip(NEXT) | instid1(VALU_DEP_1)
	v_sub_nc_u32_e32 v6, v7, v6
	v_subrev_nc_u32_e32 v10, s18, v6
	v_cmp_le_u32_e32 vcc_lo, s18, v6
	s_wait_alu 0xfffd
	s_delay_alu instid0(VALU_DEP_2) | instskip(SKIP_2) | instid1(VALU_DEP_3)
	v_cndmask_b32_e32 v6, v6, v10, vcc_lo
	v_mov_b32_e32 v10, v5
	v_cndmask_b32_e32 v2, v2, v9, vcc_lo
	v_cmp_le_u32_e32 vcc_lo, s18, v6
	s_delay_alu instid0(VALU_DEP_2) | instskip(SKIP_1) | instid1(VALU_DEP_1)
	v_add_nc_u32_e32 v9, 1, v2
	s_wait_alu 0xfffd
	v_cndmask_b32_e32 v9, v2, v9, vcc_lo
.LBB0_6:                                ;   in Loop: Header=BB0_2 Depth=1
	s_wait_alu 0xfffe
	s_or_b32 exec_lo, exec_lo, s2
	s_load_b64 s[20:21], s[12:13], 0x0
	v_mul_lo_u32 v2, v10, s18
	v_mul_lo_u32 v6, v9, s19
	v_mad_co_u64_u32 v[11:12], null, v9, s18, 0
	s_add_nc_u64 s[14:15], s[14:15], 1
	s_add_nc_u64 s[12:13], s[12:13], 8
	s_wait_alu 0xfffe
	v_cmp_ge_u64_e64 s2, s[14:15], s[6:7]
	s_add_nc_u64 s[16:17], s[16:17], 8
	s_delay_alu instid0(VALU_DEP_2) | instskip(NEXT) | instid1(VALU_DEP_3)
	v_add3_u32 v2, v12, v6, v2
	v_sub_co_u32 v6, vcc_lo, v7, v11
	s_wait_alu 0xfffd
	s_delay_alu instid0(VALU_DEP_2) | instskip(SKIP_3) | instid1(VALU_DEP_2)
	v_sub_co_ci_u32_e32 v2, vcc_lo, v8, v2, vcc_lo
	s_and_b32 vcc_lo, exec_lo, s2
	s_wait_kmcnt 0x0
	v_mul_lo_u32 v7, s21, v6
	v_mul_lo_u32 v2, s20, v2
	v_mad_co_u64_u32 v[3:4], null, s20, v6, v[3:4]
	s_delay_alu instid0(VALU_DEP_1)
	v_add3_u32 v4, v7, v4, v2
	s_wait_alu 0xfffe
	s_cbranch_vccnz .LBB0_8
; %bb.7:                                ;   in Loop: Header=BB0_2 Depth=1
	v_dual_mov_b32 v7, v9 :: v_dual_mov_b32 v8, v10
	s_branch .LBB0_2
.LBB0_8:
	s_lshl_b64 s[2:3], s[6:7], 3
	v_mul_hi_u32 v2, 0xaaaaaaab, v1
	s_wait_alu 0xfffe
	s_add_nc_u64 s[2:3], s[10:11], s[2:3]
	s_load_b64 s[0:1], s[0:1], 0x20
	s_load_b64 s[2:3], s[2:3], 0x0
	v_mul_hi_u32 v5, 0xf0f0f10, v0
	s_delay_alu instid0(VALU_DEP_2) | instskip(NEXT) | instid1(VALU_DEP_2)
	v_lshrrev_b32_e32 v2, 1, v2
	v_mul_u32_u24_e32 v5, 17, v5
	s_delay_alu instid0(VALU_DEP_2) | instskip(NEXT) | instid1(VALU_DEP_2)
	v_lshl_add_u32 v2, v2, 1, v2
	v_sub_nc_u32_e32 v124, v0, v5
	s_delay_alu instid0(VALU_DEP_2)
	v_sub_nc_u32_e32 v1, v1, v2
	s_wait_kmcnt 0x0
	v_cmp_gt_u64_e32 vcc_lo, s[0:1], v[9:10]
	v_mul_lo_u32 v6, s2, v10
	v_mul_lo_u32 v7, s3, v9
	v_mad_co_u64_u32 v[3:4], null, s2, v9, v[3:4]
	v_mul_u32_u24_e32 v2, 0x199, v1
	s_delay_alu instid0(VALU_DEP_1) | instskip(NEXT) | instid1(VALU_DEP_3)
	v_lshlrev_b32_e32 v176, 4, v2
	v_add3_u32 v4, v7, v4, v6
	s_delay_alu instid0(VALU_DEP_1)
	v_lshlrev_b64_e32 v[229:230], 4, v[3:4]
	s_and_saveexec_b32 s1, vcc_lo
	s_cbranch_execz .LBB0_12
; %bb.9:
	v_mov_b32_e32 v125, 0
	s_delay_alu instid0(VALU_DEP_2) | instskip(SKIP_2) | instid1(VALU_DEP_3)
	v_add_co_u32 v0, s0, s8, v229
	s_wait_alu 0xf1ff
	v_add_co_ci_u32_e64 v1, s0, s9, v230, s0
	v_lshlrev_b64_e32 v[3:4], 4, v[124:125]
	s_delay_alu instid0(VALU_DEP_1) | instskip(SKIP_1) | instid1(VALU_DEP_2)
	v_add_co_u32 v96, s0, v0, v3
	s_wait_alu 0xf1ff
	v_add_co_ci_u32_e64 v97, s0, v1, v4, s0
	v_lshlrev_b32_e32 v3, 4, v124
	v_cmp_eq_u32_e64 s0, 16, v124
	s_clause 0x17
	global_load_b128 v[4:7], v[96:97], off
	global_load_b128 v[8:11], v[96:97], off offset:272
	global_load_b128 v[12:15], v[96:97], off offset:544
	;; [unrolled: 1-line block ×23, first 2 shown]
	v_add3_u32 v3, 0, v176, v3
	s_wait_loadcnt 0x17
	ds_store_b128 v3, v[4:7]
	s_wait_loadcnt 0x16
	ds_store_b128 v3, v[8:11] offset:272
	s_wait_loadcnt 0x15
	ds_store_b128 v3, v[12:15] offset:544
	;; [unrolled: 2-line block ×23, first 2 shown]
	s_and_saveexec_b32 s2, s0
	s_cbranch_execz .LBB0_11
; %bb.10:
	global_load_b128 v[4:7], v[0:1], off offset:6528
	v_mov_b32_e32 v124, 16
	s_wait_loadcnt 0x0
	ds_store_b128 v3, v[4:7] offset:6272
.LBB0_11:
	s_wait_alu 0xfffe
	s_or_b32 exec_lo, exec_lo, s2
.LBB0_12:
	s_wait_alu 0xfffe
	s_or_b32 exec_lo, exec_lo, s1
	v_lshl_add_u32 v255, v2, 4, 0
	v_lshlrev_b32_e32 v0, 4, v124
	global_wb scope:SCOPE_SE
	s_wait_dscnt 0x0
	s_barrier_signal -1
	s_barrier_wait -1
	global_inv scope:SCOPE_SE
	v_add_nc_u32_e32 v231, v255, v0
	v_sub_nc_u32_e32 v10, v255, v0
	s_mov_b32 s1, exec_lo
                                        ; implicit-def: $vgpr4_vgpr5
	ds_load_b64 v[6:7], v231
	ds_load_b64 v[8:9], v10 offset:6528
	s_wait_dscnt 0x0
	v_add_f64_e32 v[0:1], v[6:7], v[8:9]
	v_add_f64_e64 v[2:3], v[6:7], -v[8:9]
	v_cmpx_ne_u32_e32 0, v124
	s_wait_alu 0xfffe
	s_xor_b32 s1, exec_lo, s1
	s_cbranch_execz .LBB0_14
; %bb.13:
	v_mov_b32_e32 v125, 0
	v_add_f64_e32 v[13:14], v[6:7], v[8:9]
	v_add_f64_e64 v[15:16], v[6:7], -v[8:9]
	s_delay_alu instid0(VALU_DEP_3) | instskip(NEXT) | instid1(VALU_DEP_1)
	v_lshlrev_b64_e32 v[0:1], 4, v[124:125]
	v_add_co_u32 v0, s0, s4, v0
	s_wait_alu 0xf1ff
	s_delay_alu instid0(VALU_DEP_2)
	v_add_co_ci_u32_e64 v1, s0, s5, v1, s0
	global_load_b128 v[2:5], v[0:1], off offset:6256
	ds_load_b64 v[0:1], v10 offset:6536
	ds_load_b64 v[11:12], v231 offset:8
	s_wait_dscnt 0x0
	v_add_f64_e32 v[6:7], v[0:1], v[11:12]
	v_add_f64_e64 v[0:1], v[11:12], -v[0:1]
	s_wait_loadcnt 0x0
	v_fma_f64 v[8:9], v[15:16], v[4:5], v[13:14]
	v_fma_f64 v[11:12], -v[15:16], v[4:5], v[13:14]
	s_delay_alu instid0(VALU_DEP_3) | instskip(SKIP_1) | instid1(VALU_DEP_4)
	v_fma_f64 v[13:14], v[6:7], v[4:5], -v[0:1]
	v_fma_f64 v[4:5], v[6:7], v[4:5], v[0:1]
	v_fma_f64 v[0:1], -v[6:7], v[2:3], v[8:9]
	s_delay_alu instid0(VALU_DEP_4) | instskip(NEXT) | instid1(VALU_DEP_4)
	v_fma_f64 v[6:7], v[6:7], v[2:3], v[11:12]
	v_fma_f64 v[8:9], v[15:16], v[2:3], v[13:14]
	s_delay_alu instid0(VALU_DEP_4)
	v_fma_f64 v[2:3], v[15:16], v[2:3], v[4:5]
	v_dual_mov_b32 v4, v124 :: v_dual_mov_b32 v5, v125
	ds_store_b128 v10, v[6:9] offset:6528
.LBB0_14:
	s_wait_alu 0xfffe
	s_and_not1_saveexec_b32 s0, s1
	s_cbranch_execz .LBB0_16
; %bb.15:
	ds_load_b128 v[4:7], v255 offset:3264
	s_wait_dscnt 0x0
	v_add_f64_e32 v[11:12], v[4:5], v[4:5]
	v_mul_f64_e32 v[13:14], -2.0, v[6:7]
	v_mov_b32_e32 v4, 0
	v_mov_b32_e32 v5, 0
	ds_store_b128 v255, v[11:14] offset:3264
.LBB0_16:
	s_wait_alu 0xfffe
	s_or_b32 exec_lo, exec_lo, s0
	v_lshlrev_b64_e32 v[4:5], 4, v[4:5]
	s_add_nc_u64 s[0:1], s[4:5], 0x1870
	s_mov_b32 s10, 0x5d8e7cdc
	s_mov_b32 s30, 0x2a9d6da3
	;; [unrolled: 1-line block ×4, first 2 shown]
	s_wait_alu 0xfffe
	v_add_co_u32 v4, s0, s0, v4
	s_wait_alu 0xf1ff
	v_add_co_ci_u32_e64 v5, s0, s1, v5, s0
	s_mov_b32 s24, 0x923c349f
	s_mov_b32 s36, 0x6c9a05f6
	;; [unrolled: 1-line block ×3, first 2 shown]
	s_clause 0x1
	global_load_b128 v[6:9], v[4:5], off offset:272
	global_load_b128 v[11:14], v[4:5], off offset:544
	ds_store_b128 v231, v[0:3]
	ds_load_b128 v[0:3], v231 offset:272
	ds_load_b128 v[15:18], v10 offset:6256
	global_load_b128 v[19:22], v[4:5], off offset:816
	s_mov_b32 s34, 0xacd6c6b4
	s_mov_b32 s11, 0xbfd71e95
	;; [unrolled: 1-line block ×18, first 2 shown]
	s_wait_dscnt 0x0
	v_add_f64_e32 v[23:24], v[0:1], v[15:16]
	v_add_f64_e32 v[25:26], v[17:18], v[2:3]
	v_add_f64_e64 v[27:28], v[0:1], -v[15:16]
	v_add_f64_e64 v[0:1], v[2:3], -v[17:18]
	s_mov_b32 s23, 0x3fe7a5f6
	s_mov_b32 s21, 0x3fdc86fa
	;; [unrolled: 1-line block ×10, first 2 shown]
	s_wait_alu 0xfffe
	s_mov_b32 s42, s24
	s_mov_b32 s45, 0x3feca52d
	;; [unrolled: 1-line block ×13, first 2 shown]
	s_mov_b32 s1, exec_lo
	s_wait_loadcnt 0x2
	s_delay_alu instid0(VALU_DEP_2) | instskip(NEXT) | instid1(VALU_DEP_2)
	v_fma_f64 v[2:3], v[27:28], v[8:9], v[23:24]
	v_fma_f64 v[15:16], v[25:26], v[8:9], v[0:1]
	v_fma_f64 v[17:18], -v[27:28], v[8:9], v[23:24]
	v_fma_f64 v[8:9], v[25:26], v[8:9], -v[0:1]
	s_delay_alu instid0(VALU_DEP_4) | instskip(NEXT) | instid1(VALU_DEP_4)
	v_fma_f64 v[0:1], -v[25:26], v[6:7], v[2:3]
	v_fma_f64 v[2:3], v[27:28], v[6:7], v[15:16]
	s_delay_alu instid0(VALU_DEP_4) | instskip(NEXT) | instid1(VALU_DEP_4)
	v_fma_f64 v[15:16], v[25:26], v[6:7], v[17:18]
	v_fma_f64 v[17:18], v[27:28], v[6:7], v[8:9]
	ds_store_b128 v231, v[0:3] offset:272
	ds_store_b128 v10, v[15:18] offset:6256
	ds_load_b128 v[0:3], v231 offset:544
	ds_load_b128 v[6:9], v10 offset:5984
	global_load_b128 v[15:18], v[4:5], off offset:1088
	s_wait_dscnt 0x0
	v_add_f64_e32 v[23:24], v[0:1], v[6:7]
	v_add_f64_e32 v[25:26], v[8:9], v[2:3]
	v_add_f64_e64 v[27:28], v[0:1], -v[6:7]
	v_add_f64_e64 v[0:1], v[2:3], -v[8:9]
	s_wait_loadcnt 0x2
	s_delay_alu instid0(VALU_DEP_2) | instskip(NEXT) | instid1(VALU_DEP_2)
	v_fma_f64 v[2:3], v[27:28], v[13:14], v[23:24]
	v_fma_f64 v[6:7], v[25:26], v[13:14], v[0:1]
	v_fma_f64 v[8:9], -v[27:28], v[13:14], v[23:24]
	v_fma_f64 v[13:14], v[25:26], v[13:14], -v[0:1]
	s_delay_alu instid0(VALU_DEP_4) | instskip(NEXT) | instid1(VALU_DEP_4)
	v_fma_f64 v[0:1], -v[25:26], v[11:12], v[2:3]
	v_fma_f64 v[2:3], v[27:28], v[11:12], v[6:7]
	s_delay_alu instid0(VALU_DEP_4) | instskip(NEXT) | instid1(VALU_DEP_4)
	v_fma_f64 v[6:7], v[25:26], v[11:12], v[8:9]
	v_fma_f64 v[8:9], v[27:28], v[11:12], v[13:14]
	ds_store_b128 v231, v[0:3] offset:544
	ds_store_b128 v10, v[6:9] offset:5984
	ds_load_b128 v[0:3], v231 offset:816
	ds_load_b128 v[6:9], v10 offset:5712
	global_load_b128 v[11:14], v[4:5], off offset:1360
	s_wait_dscnt 0x0
	v_add_f64_e32 v[23:24], v[0:1], v[6:7]
	v_add_f64_e32 v[25:26], v[8:9], v[2:3]
	v_add_f64_e64 v[27:28], v[0:1], -v[6:7]
	v_add_f64_e64 v[0:1], v[2:3], -v[8:9]
	;; [unrolled: 22-line block ×7, first 2 shown]
	s_wait_loadcnt 0x2
	s_delay_alu instid0(VALU_DEP_2) | instskip(NEXT) | instid1(VALU_DEP_2)
	v_fma_f64 v[2:3], v[27:28], v[13:14], v[23:24]
	v_fma_f64 v[6:7], v[25:26], v[13:14], v[0:1]
	v_fma_f64 v[8:9], -v[27:28], v[13:14], v[23:24]
	v_fma_f64 v[13:14], v[25:26], v[13:14], -v[0:1]
	s_delay_alu instid0(VALU_DEP_4) | instskip(NEXT) | instid1(VALU_DEP_4)
	v_fma_f64 v[0:1], -v[25:26], v[11:12], v[2:3]
	v_fma_f64 v[2:3], v[27:28], v[11:12], v[6:7]
	s_delay_alu instid0(VALU_DEP_4) | instskip(NEXT) | instid1(VALU_DEP_4)
	v_fma_f64 v[6:7], v[25:26], v[11:12], v[8:9]
	v_fma_f64 v[8:9], v[27:28], v[11:12], v[13:14]
	v_xor_b32_e32 v11, 0xff, v124
	ds_store_b128 v231, v[0:3] offset:2176
	ds_store_b128 v10, v[6:9] offset:4352
	v_lshl_add_u32 v25, v11, 4, v255
	ds_load_b128 v[0:3], v231 offset:2448
	ds_load_b128 v[6:9], v25
	global_load_b128 v[11:14], v[4:5], off offset:2992
	s_wait_dscnt 0x0
	v_add_f64_e32 v[4:5], v[0:1], v[6:7]
	v_add_f64_e32 v[23:24], v[8:9], v[2:3]
	v_add_f64_e64 v[6:7], v[0:1], -v[6:7]
	v_add_f64_e64 v[0:1], v[2:3], -v[8:9]
	s_wait_loadcnt 0x2
	s_delay_alu instid0(VALU_DEP_2) | instskip(NEXT) | instid1(VALU_DEP_2)
	v_fma_f64 v[2:3], v[6:7], v[21:22], v[4:5]
	v_fma_f64 v[8:9], v[23:24], v[21:22], v[0:1]
	v_fma_f64 v[4:5], -v[6:7], v[21:22], v[4:5]
	v_fma_f64 v[21:22], v[23:24], v[21:22], -v[0:1]
	s_delay_alu instid0(VALU_DEP_4) | instskip(NEXT) | instid1(VALU_DEP_4)
	v_fma_f64 v[0:1], -v[23:24], v[19:20], v[2:3]
	v_fma_f64 v[2:3], v[6:7], v[19:20], v[8:9]
	s_delay_alu instid0(VALU_DEP_4) | instskip(NEXT) | instid1(VALU_DEP_4)
	v_fma_f64 v[4:5], v[23:24], v[19:20], v[4:5]
	v_fma_f64 v[6:7], v[6:7], v[19:20], v[21:22]
	ds_store_b128 v231, v[0:3] offset:2448
	ds_store_b128 v25, v[4:7]
	ds_load_b128 v[0:3], v231 offset:2720
	ds_load_b128 v[4:7], v10 offset:3808
	s_wait_dscnt 0x0
	v_add_f64_e32 v[8:9], v[0:1], v[4:5]
	v_add_f64_e32 v[19:20], v[6:7], v[2:3]
	v_add_f64_e64 v[21:22], v[0:1], -v[4:5]
	v_add_f64_e64 v[0:1], v[2:3], -v[6:7]
	s_wait_loadcnt 0x1
	s_delay_alu instid0(VALU_DEP_2) | instskip(NEXT) | instid1(VALU_DEP_2)
	v_fma_f64 v[2:3], v[21:22], v[17:18], v[8:9]
	v_fma_f64 v[4:5], v[19:20], v[17:18], v[0:1]
	v_fma_f64 v[6:7], -v[21:22], v[17:18], v[8:9]
	v_fma_f64 v[8:9], v[19:20], v[17:18], -v[0:1]
	s_delay_alu instid0(VALU_DEP_4) | instskip(NEXT) | instid1(VALU_DEP_4)
	v_fma_f64 v[0:1], -v[19:20], v[15:16], v[2:3]
	v_fma_f64 v[2:3], v[21:22], v[15:16], v[4:5]
	s_delay_alu instid0(VALU_DEP_4) | instskip(NEXT) | instid1(VALU_DEP_4)
	v_fma_f64 v[4:5], v[19:20], v[15:16], v[6:7]
	v_fma_f64 v[6:7], v[21:22], v[15:16], v[8:9]
	ds_store_b128 v231, v[0:3] offset:2720
	ds_store_b128 v10, v[4:7] offset:3808
	ds_load_b128 v[0:3], v231 offset:2992
	ds_load_b128 v[4:7], v10 offset:3536
	s_wait_dscnt 0x0
	v_add_f64_e32 v[8:9], v[0:1], v[4:5]
	v_add_f64_e32 v[15:16], v[6:7], v[2:3]
	v_add_f64_e64 v[17:18], v[0:1], -v[4:5]
	v_add_f64_e64 v[0:1], v[2:3], -v[6:7]
	s_wait_loadcnt 0x0
	s_delay_alu instid0(VALU_DEP_2) | instskip(NEXT) | instid1(VALU_DEP_2)
	v_fma_f64 v[2:3], v[17:18], v[13:14], v[8:9]
	v_fma_f64 v[4:5], v[15:16], v[13:14], v[0:1]
	v_fma_f64 v[6:7], -v[17:18], v[13:14], v[8:9]
	v_fma_f64 v[8:9], v[15:16], v[13:14], -v[0:1]
	s_delay_alu instid0(VALU_DEP_4) | instskip(NEXT) | instid1(VALU_DEP_4)
	v_fma_f64 v[0:1], -v[15:16], v[11:12], v[2:3]
	v_fma_f64 v[2:3], v[17:18], v[11:12], v[4:5]
	s_delay_alu instid0(VALU_DEP_4) | instskip(NEXT) | instid1(VALU_DEP_4)
	v_fma_f64 v[4:5], v[15:16], v[11:12], v[6:7]
	v_fma_f64 v[6:7], v[17:18], v[11:12], v[8:9]
	v_lshl_add_u32 v8, v124, 4, 0
	ds_store_b128 v231, v[0:3] offset:2992
	ds_store_b128 v10, v[4:7] offset:3536
	v_add_nc_u32_e32 v125, v8, v176
	global_wb scope:SCOPE_SE
	s_wait_dscnt 0x0
	s_barrier_signal -1
	s_barrier_wait -1
	global_inv scope:SCOPE_SE
	global_wb scope:SCOPE_SE
	s_barrier_signal -1
	s_barrier_wait -1
	global_inv scope:SCOPE_SE
	ds_load_b128 v[72:75], v125 offset:384
	ds_load_b128 v[68:71], v231
	ds_load_b128 v[0:3], v125 offset:272
	ds_load_b128 v[4:7], v125 offset:656
	ds_load_b128 v[12:15], v125 offset:768
	ds_load_b128 v[8:11], v125 offset:1040
	s_wait_dscnt 0x4
	v_add_f64_e32 v[16:17], v[68:69], v[72:73]
	v_add_f64_e32 v[18:19], v[70:71], v[74:75]
	s_wait_dscnt 0x1
	s_delay_alu instid0(VALU_DEP_2) | instskip(NEXT) | instid1(VALU_DEP_2)
	v_add_f64_e32 v[24:25], v[16:17], v[12:13]
	v_add_f64_e32 v[26:27], v[18:19], v[14:15]
	ds_load_b128 v[16:19], v125 offset:1152
	ds_load_b128 v[20:23], v125 offset:1424
	s_wait_dscnt 0x1
	v_add_f64_e32 v[32:33], v[24:25], v[16:17]
	v_add_f64_e32 v[34:35], v[26:27], v[18:19]
	ds_load_b128 v[24:27], v125 offset:1536
	ds_load_b128 v[28:31], v125 offset:1808
	s_wait_dscnt 0x1
	v_add_f64_e32 v[40:41], v[32:33], v[24:25]
	v_add_f64_e32 v[42:43], v[34:35], v[26:27]
	ds_load_b128 v[32:35], v125 offset:1920
	ds_load_b128 v[36:39], v125 offset:2192
	s_wait_dscnt 0x1
	v_add_f64_e32 v[44:45], v[40:41], v[32:33]
	v_add_f64_e32 v[46:47], v[42:43], v[34:35]
	ds_load_b128 v[40:43], v125 offset:2304
	ds_load_b128 v[48:51], v125 offset:2576
	s_wait_dscnt 0x1
	v_add_f64_e32 v[52:53], v[44:45], v[40:41]
	v_add_f64_e32 v[54:55], v[46:47], v[42:43]
	ds_load_b128 v[44:47], v125 offset:2688
	ds_load_b128 v[56:59], v125 offset:2960
	s_wait_dscnt 0x1
	v_add_f64_e32 v[60:61], v[52:53], v[44:45]
	v_add_f64_e32 v[62:63], v[54:55], v[46:47]
	ds_load_b128 v[52:55], v125 offset:3072
	ds_load_b128 v[64:67], v125 offset:3344
	s_wait_dscnt 0x1
	v_add_f64_e32 v[84:85], v[60:61], v[52:53]
	v_add_f64_e32 v[86:87], v[62:63], v[54:55]
	ds_load_b128 v[76:79], v125 offset:3456
	ds_load_b128 v[60:63], v125 offset:3728
	s_wait_dscnt 0x1
	v_add_f64_e32 v[80:81], v[52:53], v[76:77]
	v_add_f64_e32 v[82:83], v[54:55], v[78:79]
	v_add_f64_e64 v[92:93], v[52:53], -v[76:77]
	v_add_f64_e64 v[94:95], v[54:55], -v[78:79]
	v_add_f64_e32 v[88:89], v[84:85], v[76:77]
	v_add_f64_e32 v[90:91], v[86:87], v[78:79]
	ds_load_b128 v[76:79], v125 offset:3840
	ds_load_b128 v[52:55], v125 offset:4112
	s_wait_dscnt 0x1
	v_add_f64_e32 v[84:85], v[44:45], v[76:77]
	v_add_f64_e32 v[86:87], v[46:47], v[78:79]
	v_add_f64_e64 v[100:101], v[44:45], -v[76:77]
	v_add_f64_e64 v[102:103], v[46:47], -v[78:79]
	v_mul_f64_e32 v[225:226], s[48:49], v[94:95]
	v_add_f64_e32 v[96:97], v[88:89], v[76:77]
	v_add_f64_e32 v[98:99], v[90:91], v[78:79]
	ds_load_b128 v[76:79], v125 offset:4224
	ds_load_b128 v[44:47], v125 offset:4496
	s_wait_dscnt 0x1
	v_add_f64_e32 v[88:89], v[40:41], v[76:77]
	v_add_f64_e32 v[90:91], v[42:43], v[78:79]
	v_add_f64_e64 v[108:109], v[40:41], -v[76:77]
	v_add_f64_e64 v[110:111], v[42:43], -v[78:79]
	v_mul_f64_e32 v[221:222], s[44:45], v[102:103]
	v_mul_f64_e32 v[223:224], s[44:45], v[100:101]
	v_add_f64_e32 v[104:105], v[96:97], v[76:77]
	v_add_f64_e32 v[106:107], v[98:99], v[78:79]
	ds_load_b128 v[76:79], v125 offset:4608
	ds_load_b128 v[40:43], v125 offset:4880
	s_wait_dscnt 0x1
	v_add_f64_e32 v[96:97], v[32:33], v[76:77]
	v_add_f64_e32 v[98:99], v[34:35], v[78:79]
	v_add_f64_e64 v[116:117], v[32:33], -v[76:77]
	v_add_f64_e64 v[122:123], v[34:35], -v[78:79]
	v_add_f64_e32 v[112:113], v[104:105], v[76:77]
	v_add_f64_e32 v[114:115], v[106:107], v[78:79]
	ds_load_b128 v[76:79], v125 offset:4992
	ds_load_b128 v[32:35], v125 offset:5264
	s_wait_dscnt 0x1
	v_add_f64_e32 v[104:105], v[24:25], v[76:77]
	v_add_f64_e32 v[106:107], v[26:27], v[78:79]
	v_add_f64_e64 v[128:129], v[24:25], -v[76:77]
	v_add_f64_e64 v[130:131], v[26:27], -v[78:79]
	;; [unrolled: 9-line block ×4, first 2 shown]
	v_add_f64_e32 v[140:141], v[140:141], v[76:77]
	v_add_f64_e32 v[142:143], v[142:143], v[78:79]
	ds_load_b128 v[76:79], v125 offset:6144
	ds_load_b128 v[12:15], v125 offset:6416
	global_wb scope:SCOPE_SE
	s_wait_dscnt 0x0
	s_barrier_signal -1
	s_barrier_wait -1
	global_inv scope:SCOPE_SE
	v_add_f64_e64 v[144:145], v[74:75], -v[78:79]
	v_add_f64_e32 v[146:147], v[72:73], v[76:77]
	v_add_f64_e32 v[148:149], v[74:75], v[78:79]
	v_add_f64_e64 v[150:151], v[72:73], -v[76:77]
	v_add_f64_e32 v[72:73], v[140:141], v[76:77]
	v_add_f64_e32 v[74:75], v[142:143], v[78:79]
	v_mul_f64_e32 v[76:77], s[10:11], v[144:145]
	v_mul_f64_e32 v[78:79], s[30:31], v[144:145]
	v_mul_f64_e32 v[140:141], s[16:17], v[144:145]
	v_mul_f64_e32 v[142:143], s[40:41], v[144:145]
	v_mul_f64_e32 v[152:153], s[24:25], v[144:145]
	v_mul_f64_e32 v[154:155], s[36:37], v[144:145]
	v_mul_f64_e32 v[156:157], s[28:29], v[144:145]
	v_mul_f64_e32 v[144:145], s[34:35], v[144:145]
	v_mul_f64_e32 v[183:184], s[24:25], v[150:151]
	v_mul_f64_e32 v[185:186], s[36:37], v[150:151]
	v_mul_f64_e32 v[187:188], s[28:29], v[150:151]
	v_fma_f64 v[158:159], v[146:147], s[26:27], -v[76:77]
	v_fma_f64 v[76:77], v[146:147], s[26:27], v[76:77]
	v_fma_f64 v[160:161], v[146:147], s[22:23], -v[78:79]
	v_fma_f64 v[78:79], v[146:147], s[22:23], v[78:79]
	;; [unrolled: 2-line block ×8, first 2 shown]
	v_mul_f64_e32 v[140:141], s[10:11], v[150:151]
	v_mul_f64_e32 v[142:143], s[30:31], v[150:151]
	;; [unrolled: 1-line block ×5, first 2 shown]
	v_fma_f64 v[205:206], v[148:149], s[14:15], v[183:184]
	v_fma_f64 v[207:208], v[148:149], s[12:13], v[185:186]
	;; [unrolled: 1-line block ×3, first 2 shown]
	v_fma_f64 v[183:184], v[148:149], s[14:15], -v[183:184]
	v_fma_f64 v[185:186], v[148:149], s[12:13], -v[185:186]
	;; [unrolled: 1-line block ×3, first 2 shown]
	v_add_f64_e32 v[162:163], v[68:69], v[162:163]
	v_add_f64_e32 v[164:165], v[68:69], v[164:165]
	;; [unrolled: 1-line block ×8, first 2 shown]
	v_fma_f64 v[189:190], v[148:149], s[26:27], v[140:141]
	v_fma_f64 v[191:192], v[148:149], s[26:27], -v[140:141]
	v_fma_f64 v[193:194], v[148:149], s[22:23], v[142:143]
	v_fma_f64 v[195:196], v[148:149], s[22:23], -v[142:143]
	;; [unrolled: 2-line block ×5, first 2 shown]
	v_add_f64_e32 v[140:141], v[68:69], v[158:159]
	v_add_f64_e32 v[146:147], v[68:69], v[76:77]
	;; [unrolled: 1-line block ×7, first 2 shown]
	v_mul_f64_e32 v[179:180], s[38:39], v[116:117]
	v_mul_f64_e32 v[181:182], s[42:43], v[110:111]
	;; [unrolled: 1-line block ×3, first 2 shown]
	v_add_f64_e32 v[142:143], v[70:71], v[189:190]
	v_add_f64_e32 v[144:145], v[70:71], v[191:192]
	;; [unrolled: 1-line block ×15, first 2 shown]
	v_mul_f64_e32 v[68:69], s[40:41], v[138:139]
	v_add_f64_e32 v[211:212], v[70:71], v[211:212]
	v_add_f64_e32 v[219:220], v[70:71], v[148:149]
	v_mul_f64_e32 v[148:149], s[40:41], v[136:137]
	v_mul_f64_e32 v[152:153], s[36:37], v[132:133]
	v_mul_f64_e32 v[154:155], s[34:35], v[130:131]
	v_mul_f64_e32 v[156:157], s[34:35], v[128:129]
	v_mul_f64_e32 v[177:178], s[38:39], v[122:123]
	v_fma_f64 v[70:71], v[118:119], s[18:19], -v[68:69]
	v_fma_f64 v[68:69], v[118:119], s[18:19], v[68:69]
	s_delay_alu instid0(VALU_DEP_2) | instskip(SKIP_1) | instid1(VALU_DEP_3)
	v_add_f64_e32 v[70:71], v[70:71], v[76:77]
	v_fma_f64 v[76:77], v[120:121], s[18:19], v[148:149]
	v_add_f64_e32 v[68:69], v[68:69], v[158:159]
	v_fma_f64 v[148:149], v[120:121], s[18:19], -v[148:149]
	s_delay_alu instid0(VALU_DEP_3) | instskip(SKIP_1) | instid1(VALU_DEP_3)
	v_add_f64_e32 v[76:77], v[76:77], v[150:151]
	v_mul_f64_e32 v[150:151], s[36:37], v[134:135]
	v_add_f64_e32 v[148:149], v[148:149], v[160:161]
	s_delay_alu instid0(VALU_DEP_2) | instskip(SKIP_1) | instid1(VALU_DEP_2)
	v_fma_f64 v[78:79], v[112:113], s[12:13], -v[150:151]
	v_fma_f64 v[150:151], v[112:113], s[12:13], v[150:151]
	v_add_f64_e32 v[70:71], v[78:79], v[70:71]
	v_fma_f64 v[78:79], v[114:115], s[12:13], v[152:153]
	s_delay_alu instid0(VALU_DEP_3) | instskip(SKIP_2) | instid1(VALU_DEP_4)
	v_add_f64_e32 v[68:69], v[150:151], v[68:69]
	v_fma_f64 v[150:151], v[114:115], s[12:13], -v[152:153]
	v_mul_f64_e32 v[152:153], s[36:37], v[138:139]
	v_add_f64_e32 v[76:77], v[78:79], v[76:77]
	v_fma_f64 v[78:79], v[104:105], s[2:3], -v[154:155]
	s_delay_alu instid0(VALU_DEP_4) | instskip(SKIP_2) | instid1(VALU_DEP_4)
	v_add_f64_e32 v[148:149], v[150:151], v[148:149]
	v_fma_f64 v[150:151], v[104:105], s[2:3], v[154:155]
	v_mul_f64_e32 v[154:155], s[36:37], v[136:137]
	v_add_f64_e32 v[70:71], v[78:79], v[70:71]
	v_fma_f64 v[78:79], v[106:107], s[2:3], v[156:157]
	s_delay_alu instid0(VALU_DEP_4) | instskip(SKIP_2) | instid1(VALU_DEP_4)
	v_add_f64_e32 v[68:69], v[150:151], v[68:69]
	v_fma_f64 v[150:151], v[106:107], s[2:3], -v[156:157]
	v_mul_f64_e32 v[156:157], s[46:47], v[134:135]
	v_add_f64_e32 v[76:77], v[78:79], v[76:77]
	v_fma_f64 v[78:79], v[96:97], s[6:7], -v[177:178]
	s_delay_alu instid0(VALU_DEP_4)
	v_add_f64_e32 v[148:149], v[150:151], v[148:149]
	v_fma_f64 v[150:151], v[96:97], s[6:7], v[177:178]
	v_fma_f64 v[158:159], v[112:113], s[2:3], -v[156:157]
	v_fma_f64 v[156:157], v[112:113], s[2:3], v[156:157]
	v_add_f64_e32 v[70:71], v[78:79], v[70:71]
	v_fma_f64 v[78:79], v[98:99], s[6:7], v[179:180]
	v_add_f64_e32 v[68:69], v[150:151], v[68:69]
	v_fma_f64 v[150:151], v[98:99], s[6:7], -v[179:180]
	s_delay_alu instid0(VALU_DEP_3) | instskip(SKIP_1) | instid1(VALU_DEP_3)
	v_add_f64_e32 v[76:77], v[78:79], v[76:77]
	v_fma_f64 v[78:79], v[88:89], s[14:15], -v[181:182]
	v_add_f64_e32 v[148:149], v[150:151], v[148:149]
	v_fma_f64 v[150:151], v[88:89], s[14:15], v[181:182]
	s_delay_alu instid0(VALU_DEP_3) | instskip(SKIP_1) | instid1(VALU_DEP_3)
	v_add_f64_e32 v[70:71], v[78:79], v[70:71]
	v_fma_f64 v[78:79], v[90:91], s[14:15], v[187:188]
	v_add_f64_e32 v[68:69], v[150:151], v[68:69]
	v_fma_f64 v[150:151], v[90:91], s[14:15], -v[187:188]
	s_delay_alu instid0(VALU_DEP_3) | instskip(SKIP_1) | instid1(VALU_DEP_3)
	v_add_f64_e32 v[76:77], v[78:79], v[76:77]
	v_fma_f64 v[78:79], v[84:85], s[20:21], -v[221:222]
	v_add_f64_e32 v[148:149], v[150:151], v[148:149]
	v_fma_f64 v[150:151], v[84:85], s[20:21], v[221:222]
	s_delay_alu instid0(VALU_DEP_3) | instskip(SKIP_1) | instid1(VALU_DEP_3)
	;; [unrolled: 10-line block ×3, first 2 shown]
	v_add_f64_e32 v[76:77], v[76:77], v[70:71]
	v_mul_f64_e32 v[70:71], s[48:49], v[92:93]
	v_add_f64_e32 v[68:69], v[150:151], v[68:69]
	v_fma_f64 v[150:151], v[120:121], s[12:13], v[154:155]
	v_fma_f64 v[154:155], v[120:121], s[12:13], -v[154:155]
	s_delay_alu instid0(VALU_DEP_4) | instskip(SKIP_1) | instid1(VALU_DEP_4)
	v_fma_f64 v[227:228], v[82:83], s[26:27], v[70:71]
	v_fma_f64 v[70:71], v[82:83], s[26:27], -v[70:71]
	v_add_f64_e32 v[150:151], v[150:151], v[189:190]
	s_delay_alu instid0(VALU_DEP_4) | instskip(NEXT) | instid1(VALU_DEP_4)
	v_add_f64_e32 v[154:155], v[154:155], v[191:192]
	v_add_f64_e32 v[78:79], v[227:228], v[78:79]
	s_delay_alu instid0(VALU_DEP_4) | instskip(SKIP_2) | instid1(VALU_DEP_2)
	v_add_f64_e32 v[70:71], v[70:71], v[148:149]
	v_fma_f64 v[148:149], v[118:119], s[12:13], -v[152:153]
	v_fma_f64 v[152:153], v[118:119], s[12:13], v[152:153]
	v_add_f64_e32 v[148:149], v[148:149], v[162:163]
	s_delay_alu instid0(VALU_DEP_2) | instskip(SKIP_1) | instid1(VALU_DEP_3)
	v_add_f64_e32 v[152:153], v[152:153], v[164:165]
	v_mul_f64_e32 v[164:165], s[42:43], v[134:135]
	v_add_f64_e32 v[148:149], v[158:159], v[148:149]
	v_mul_f64_e32 v[158:159], s[46:47], v[132:133]
	s_delay_alu instid0(VALU_DEP_4) | instskip(NEXT) | instid1(VALU_DEP_2)
	v_add_f64_e32 v[152:153], v[156:157], v[152:153]
	v_fma_f64 v[160:161], v[114:115], s[2:3], v[158:159]
	v_fma_f64 v[156:157], v[114:115], s[2:3], -v[158:159]
	s_delay_alu instid0(VALU_DEP_2) | instskip(SKIP_1) | instid1(VALU_DEP_3)
	v_add_f64_e32 v[150:151], v[160:161], v[150:151]
	v_mul_f64_e32 v[160:161], s[42:43], v[130:131]
	v_add_f64_e32 v[154:155], v[156:157], v[154:155]
	s_delay_alu instid0(VALU_DEP_2) | instskip(SKIP_2) | instid1(VALU_DEP_3)
	v_fma_f64 v[162:163], v[104:105], s[14:15], -v[160:161]
	v_fma_f64 v[156:157], v[104:105], s[14:15], v[160:161]
	v_mul_f64_e32 v[160:161], s[34:35], v[138:139]
	v_add_f64_e32 v[148:149], v[162:163], v[148:149]
	v_mul_f64_e32 v[162:163], s[42:43], v[128:129]
	s_delay_alu instid0(VALU_DEP_4) | instskip(NEXT) | instid1(VALU_DEP_2)
	v_add_f64_e32 v[152:153], v[156:157], v[152:153]
	v_fma_f64 v[177:178], v[106:107], s[14:15], v[162:163]
	v_fma_f64 v[156:157], v[106:107], s[14:15], -v[162:163]
	v_mul_f64_e32 v[162:163], s[34:35], v[136:137]
	s_delay_alu instid0(VALU_DEP_3) | instskip(SKIP_1) | instid1(VALU_DEP_4)
	v_add_f64_e32 v[150:151], v[177:178], v[150:151]
	v_mul_f64_e32 v[177:178], s[50:51], v[122:123]
	v_add_f64_e32 v[154:155], v[156:157], v[154:155]
	s_delay_alu instid0(VALU_DEP_2) | instskip(SKIP_1) | instid1(VALU_DEP_2)
	v_fma_f64 v[179:180], v[96:97], s[22:23], -v[177:178]
	v_fma_f64 v[156:157], v[96:97], s[22:23], v[177:178]
	v_add_f64_e32 v[148:149], v[179:180], v[148:149]
	v_mul_f64_e32 v[179:180], s[50:51], v[116:117]
	s_delay_alu instid0(VALU_DEP_3) | instskip(NEXT) | instid1(VALU_DEP_2)
	v_add_f64_e32 v[152:153], v[156:157], v[152:153]
	v_fma_f64 v[181:182], v[98:99], s[22:23], v[179:180]
	v_fma_f64 v[156:157], v[98:99], s[22:23], -v[179:180]
	s_delay_alu instid0(VALU_DEP_2) | instskip(SKIP_1) | instid1(VALU_DEP_3)
	v_add_f64_e32 v[150:151], v[181:182], v[150:151]
	v_mul_f64_e32 v[181:182], s[10:11], v[110:111]
	v_add_f64_e32 v[154:155], v[156:157], v[154:155]
	s_delay_alu instid0(VALU_DEP_2) | instskip(SKIP_1) | instid1(VALU_DEP_2)
	v_fma_f64 v[187:188], v[88:89], s[26:27], -v[181:182]
	v_fma_f64 v[156:157], v[88:89], s[26:27], v[181:182]
	v_add_f64_e32 v[148:149], v[187:188], v[148:149]
	v_mul_f64_e32 v[187:188], s[10:11], v[108:109]
	s_delay_alu instid0(VALU_DEP_3) | instskip(NEXT) | instid1(VALU_DEP_2)
	v_add_f64_e32 v[152:153], v[156:157], v[152:153]
	v_fma_f64 v[189:190], v[90:91], s[26:27], v[187:188]
	v_fma_f64 v[156:157], v[90:91], s[26:27], -v[187:188]
	s_delay_alu instid0(VALU_DEP_2) | instskip(SKIP_1) | instid1(VALU_DEP_3)
	;; [unrolled: 13-line block ×3, first 2 shown]
	v_add_f64_e32 v[150:151], v[223:224], v[150:151]
	v_mul_f64_e32 v[223:224], s[28:29], v[94:95]
	v_add_f64_e32 v[154:155], v[156:157], v[154:155]
	s_delay_alu instid0(VALU_DEP_2) | instskip(SKIP_1) | instid1(VALU_DEP_2)
	v_fma_f64 v[225:226], v[80:81], s[6:7], -v[223:224]
	v_fma_f64 v[156:157], v[80:81], s[6:7], v[223:224]
	v_add_f64_e32 v[148:149], v[225:226], v[148:149]
	v_mul_f64_e32 v[225:226], s[28:29], v[92:93]
	s_delay_alu instid0(VALU_DEP_3) | instskip(SKIP_2) | instid1(VALU_DEP_4)
	v_add_f64_e32 v[152:153], v[156:157], v[152:153]
	v_fma_f64 v[156:157], v[118:119], s[2:3], -v[160:161]
	v_fma_f64 v[160:161], v[118:119], s[2:3], v[160:161]
	v_fma_f64 v[158:159], v[82:83], s[6:7], -v[225:226]
	v_fma_f64 v[227:228], v[82:83], s[6:7], v[225:226]
	s_delay_alu instid0(VALU_DEP_4)
	v_add_f64_e32 v[156:157], v[156:157], v[166:167]
	v_fma_f64 v[166:167], v[112:113], s[14:15], -v[164:165]
	v_add_f64_e32 v[160:161], v[160:161], v[168:169]
	v_fma_f64 v[164:165], v[112:113], s[14:15], v[164:165]
	v_mul_f64_e32 v[168:169], s[38:39], v[138:139]
	v_add_f64_e32 v[154:155], v[158:159], v[154:155]
	v_fma_f64 v[158:159], v[120:121], s[2:3], v[162:163]
	v_fma_f64 v[162:163], v[120:121], s[2:3], -v[162:163]
	v_add_f64_e32 v[156:157], v[166:167], v[156:157]
	v_mul_f64_e32 v[166:167], s[42:43], v[132:133]
	v_add_f64_e32 v[160:161], v[164:165], v[160:161]
	v_add_f64_e32 v[150:151], v[227:228], v[150:151]
	;; [unrolled: 1-line block ×4, first 2 shown]
	v_fma_f64 v[177:178], v[114:115], s[14:15], v[166:167]
	v_fma_f64 v[164:165], v[114:115], s[14:15], -v[166:167]
	s_delay_alu instid0(VALU_DEP_2) | instskip(SKIP_1) | instid1(VALU_DEP_3)
	v_add_f64_e32 v[158:159], v[177:178], v[158:159]
	v_mul_f64_e32 v[177:178], s[48:49], v[130:131]
	v_add_f64_e32 v[162:163], v[164:165], v[162:163]
	s_delay_alu instid0(VALU_DEP_2) | instskip(SKIP_2) | instid1(VALU_DEP_3)
	v_fma_f64 v[179:180], v[104:105], s[26:27], -v[177:178]
	v_fma_f64 v[164:165], v[104:105], s[26:27], v[177:178]
	v_mul_f64_e32 v[177:178], s[50:51], v[134:135]
	v_add_f64_e32 v[156:157], v[179:180], v[156:157]
	v_mul_f64_e32 v[179:180], s[48:49], v[128:129]
	s_delay_alu instid0(VALU_DEP_4) | instskip(NEXT) | instid1(VALU_DEP_2)
	v_add_f64_e32 v[160:161], v[164:165], v[160:161]
	v_fma_f64 v[181:182], v[106:107], s[26:27], v[179:180]
	v_fma_f64 v[164:165], v[106:107], s[26:27], -v[179:180]
	v_fma_f64 v[179:180], v[112:113], s[22:23], -v[177:178]
	v_fma_f64 v[177:178], v[112:113], s[22:23], v[177:178]
	s_delay_alu instid0(VALU_DEP_4) | instskip(SKIP_2) | instid1(VALU_DEP_2)
	v_add_f64_e32 v[158:159], v[181:182], v[158:159]
	v_mul_f64_e32 v[181:182], s[16:17], v[122:123]
	v_add_f64_e32 v[162:163], v[164:165], v[162:163]
	v_fma_f64 v[187:188], v[96:97], s[20:21], -v[181:182]
	v_fma_f64 v[164:165], v[96:97], s[20:21], v[181:182]
	s_delay_alu instid0(VALU_DEP_2) | instskip(SKIP_1) | instid1(VALU_DEP_3)
	v_add_f64_e32 v[156:157], v[187:188], v[156:157]
	v_mul_f64_e32 v[187:188], s[16:17], v[116:117]
	v_add_f64_e32 v[160:161], v[164:165], v[160:161]
	s_delay_alu instid0(VALU_DEP_2) | instskip(SKIP_1) | instid1(VALU_DEP_2)
	v_fma_f64 v[189:190], v[98:99], s[20:21], v[187:188]
	v_fma_f64 v[164:165], v[98:99], s[20:21], -v[187:188]
	v_add_f64_e32 v[158:159], v[189:190], v[158:159]
	v_mul_f64_e32 v[189:190], s[28:29], v[110:111]
	s_delay_alu instid0(VALU_DEP_3) | instskip(NEXT) | instid1(VALU_DEP_2)
	v_add_f64_e32 v[162:163], v[164:165], v[162:163]
	v_fma_f64 v[191:192], v[88:89], s[6:7], -v[189:190]
	v_fma_f64 v[164:165], v[88:89], s[6:7], v[189:190]
	s_delay_alu instid0(VALU_DEP_2) | instskip(SKIP_1) | instid1(VALU_DEP_3)
	v_add_f64_e32 v[156:157], v[191:192], v[156:157]
	v_mul_f64_e32 v[191:192], s[28:29], v[108:109]
	v_add_f64_e32 v[160:161], v[164:165], v[160:161]
	s_delay_alu instid0(VALU_DEP_2) | instskip(SKIP_1) | instid1(VALU_DEP_2)
	v_fma_f64 v[193:194], v[90:91], s[6:7], v[191:192]
	v_fma_f64 v[164:165], v[90:91], s[6:7], -v[191:192]
	v_add_f64_e32 v[158:159], v[193:194], v[158:159]
	v_mul_f64_e32 v[193:194], s[52:53], v[102:103]
	s_delay_alu instid0(VALU_DEP_3) | instskip(NEXT) | instid1(VALU_DEP_2)
	;; [unrolled: 13-line block ×3, first 2 shown]
	v_add_f64_e32 v[162:163], v[164:165], v[162:163]
	v_fma_f64 v[225:226], v[80:81], s[22:23], -v[223:224]
	v_fma_f64 v[164:165], v[80:81], s[22:23], v[223:224]
	s_delay_alu instid0(VALU_DEP_2) | instskip(SKIP_1) | instid1(VALU_DEP_3)
	v_add_f64_e32 v[156:157], v[225:226], v[156:157]
	v_mul_f64_e32 v[225:226], s[50:51], v[92:93]
	v_add_f64_e32 v[160:161], v[164:165], v[160:161]
	v_fma_f64 v[164:165], v[118:119], s[6:7], -v[168:169]
	v_fma_f64 v[168:169], v[118:119], s[6:7], v[168:169]
	s_delay_alu instid0(VALU_DEP_4) | instskip(SKIP_1) | instid1(VALU_DEP_4)
	v_fma_f64 v[166:167], v[82:83], s[22:23], -v[225:226]
	v_fma_f64 v[227:228], v[82:83], s[22:23], v[225:226]
	v_add_f64_e32 v[164:165], v[164:165], v[170:171]
	v_mul_f64_e32 v[170:171], s[38:39], v[136:137]
	v_add_f64_e32 v[168:169], v[168:169], v[199:200]
	v_mul_f64_e32 v[199:200], s[30:31], v[110:111]
	v_add_f64_e32 v[162:163], v[166:167], v[162:163]
	v_add_f64_e32 v[158:159], v[227:228], v[158:159]
	;; [unrolled: 1-line block ×3, first 2 shown]
	v_fma_f64 v[166:167], v[120:121], s[6:7], v[170:171]
	v_mul_f64_e32 v[179:180], s[50:51], v[132:133]
	v_fma_f64 v[170:171], v[120:121], s[6:7], -v[170:171]
	v_add_f64_e32 v[168:169], v[177:178], v[168:169]
	s_delay_alu instid0(VALU_DEP_4) | instskip(NEXT) | instid1(VALU_DEP_4)
	v_add_f64_e32 v[166:167], v[166:167], v[197:198]
	v_fma_f64 v[181:182], v[114:115], s[22:23], v[179:180]
	s_delay_alu instid0(VALU_DEP_4) | instskip(SKIP_2) | instid1(VALU_DEP_4)
	v_add_f64_e32 v[170:171], v[170:171], v[183:184]
	v_fma_f64 v[177:178], v[114:115], s[22:23], -v[179:180]
	v_mul_f64_e32 v[183:184], s[42:43], v[136:137]
	v_add_f64_e32 v[166:167], v[181:182], v[166:167]
	v_mul_f64_e32 v[181:182], s[16:17], v[130:131]
	s_delay_alu instid0(VALU_DEP_4) | instskip(NEXT) | instid1(VALU_DEP_2)
	v_add_f64_e32 v[170:171], v[177:178], v[170:171]
	v_fma_f64 v[187:188], v[104:105], s[20:21], -v[181:182]
	v_fma_f64 v[177:178], v[104:105], s[20:21], v[181:182]
	v_mul_f64_e32 v[181:182], s[42:43], v[138:139]
	s_delay_alu instid0(VALU_DEP_3) | instskip(SKIP_1) | instid1(VALU_DEP_4)
	v_add_f64_e32 v[164:165], v[187:188], v[164:165]
	v_mul_f64_e32 v[187:188], s[16:17], v[128:129]
	v_add_f64_e32 v[168:169], v[177:178], v[168:169]
	s_delay_alu instid0(VALU_DEP_2) | instskip(SKIP_2) | instid1(VALU_DEP_3)
	v_fma_f64 v[189:190], v[106:107], s[20:21], v[187:188]
	v_fma_f64 v[177:178], v[106:107], s[20:21], -v[187:188]
	v_mul_f64_e32 v[187:188], s[10:11], v[134:135]
	v_add_f64_e32 v[166:167], v[189:190], v[166:167]
	v_mul_f64_e32 v[189:190], s[34:35], v[122:123]
	s_delay_alu instid0(VALU_DEP_4) | instskip(NEXT) | instid1(VALU_DEP_2)
	v_add_f64_e32 v[170:171], v[177:178], v[170:171]
	v_fma_f64 v[191:192], v[96:97], s[2:3], -v[189:190]
	v_fma_f64 v[177:178], v[96:97], s[2:3], v[189:190]
	v_mul_f64_e32 v[189:190], s[10:11], v[132:133]
	s_delay_alu instid0(VALU_DEP_3) | instskip(SKIP_1) | instid1(VALU_DEP_4)
	v_add_f64_e32 v[164:165], v[191:192], v[164:165]
	v_mul_f64_e32 v[191:192], s[34:35], v[116:117]
	v_add_f64_e32 v[168:169], v[177:178], v[168:169]
	s_delay_alu instid0(VALU_DEP_2) | instskip(SKIP_2) | instid1(VALU_DEP_3)
	v_fma_f64 v[193:194], v[98:99], s[2:3], v[191:192]
	;; [unrolled: 15-line block ×4, first 2 shown]
	v_fma_f64 v[177:178], v[86:87], s[26:27], -v[221:222]
	v_mul_f64_e32 v[221:222], s[34:35], v[102:103]
	v_add_f64_e32 v[166:167], v[223:224], v[166:167]
	v_mul_f64_e32 v[223:224], s[36:37], v[94:95]
	s_delay_alu instid0(VALU_DEP_4) | instskip(NEXT) | instid1(VALU_DEP_2)
	v_add_f64_e32 v[170:171], v[177:178], v[170:171]
	v_fma_f64 v[225:226], v[80:81], s[12:13], -v[223:224]
	v_fma_f64 v[177:178], v[80:81], s[12:13], v[223:224]
	v_mul_f64_e32 v[223:224], s[34:35], v[100:101]
	s_delay_alu instid0(VALU_DEP_3) | instskip(SKIP_1) | instid1(VALU_DEP_4)
	v_add_f64_e32 v[164:165], v[225:226], v[164:165]
	v_mul_f64_e32 v[225:226], s[36:37], v[92:93]
	v_add_f64_e32 v[168:169], v[177:178], v[168:169]
	v_fma_f64 v[177:178], v[118:119], s[14:15], -v[181:182]
	v_fma_f64 v[181:182], v[118:119], s[14:15], v[181:182]
	s_delay_alu instid0(VALU_DEP_4) | instskip(SKIP_1) | instid1(VALU_DEP_4)
	v_fma_f64 v[179:180], v[82:83], s[12:13], -v[225:226]
	v_fma_f64 v[227:228], v[82:83], s[12:13], v[225:226]
	v_add_f64_e32 v[172:173], v[177:178], v[172:173]
	v_fma_f64 v[177:178], v[120:121], s[14:15], v[183:184]
	v_fma_f64 v[183:184], v[120:121], s[14:15], -v[183:184]
	v_add_f64_e32 v[181:182], v[181:182], v[203:204]
	v_mul_f64_e32 v[225:226], s[44:45], v[94:95]
	v_add_f64_e32 v[170:171], v[179:180], v[170:171]
	v_fma_f64 v[179:180], v[112:113], s[26:27], -v[187:188]
	v_add_f64_e32 v[166:167], v[227:228], v[166:167]
	v_add_f64_e32 v[177:178], v[177:178], v[201:202]
	v_add_f64_e32 v[183:184], v[183:184], v[185:186]
	v_fma_f64 v[185:186], v[112:113], s[26:27], v[187:188]
	v_mul_f64_e32 v[201:202], s[30:31], v[108:109]
	v_add_f64_e32 v[172:173], v[179:180], v[172:173]
	v_fma_f64 v[179:180], v[114:115], s[26:27], v[189:190]
	s_delay_alu instid0(VALU_DEP_4) | instskip(SKIP_2) | instid1(VALU_DEP_4)
	v_add_f64_e32 v[181:182], v[185:186], v[181:182]
	v_fma_f64 v[185:186], v[114:115], s[26:27], -v[189:190]
	v_mul_f64_e32 v[189:190], s[44:45], v[136:137]
	v_add_f64_e32 v[177:178], v[179:180], v[177:178]
	v_fma_f64 v[179:180], v[104:105], s[6:7], -v[191:192]
	s_delay_alu instid0(VALU_DEP_4)
	v_add_f64_e32 v[183:184], v[185:186], v[183:184]
	v_fma_f64 v[185:186], v[104:105], s[6:7], v[191:192]
	v_mul_f64_e32 v[191:192], s[40:41], v[134:135]
	v_fma_f64 v[187:188], v[120:121], s[20:21], v[189:190]
	v_fma_f64 v[189:190], v[120:121], s[20:21], -v[189:190]
	v_add_f64_e32 v[172:173], v[179:180], v[172:173]
	v_fma_f64 v[179:180], v[106:107], s[6:7], v[193:194]
	v_add_f64_e32 v[181:182], v[185:186], v[181:182]
	v_fma_f64 v[185:186], v[106:107], s[6:7], -v[193:194]
	v_fma_f64 v[193:194], v[112:113], s[18:19], -v[191:192]
	v_add_f64_e32 v[187:188], v[187:188], v[207:208]
	v_fma_f64 v[191:192], v[112:113], s[18:19], v[191:192]
	v_add_f64_e32 v[189:190], v[189:190], v[213:214]
	v_add_f64_e32 v[177:178], v[179:180], v[177:178]
	v_fma_f64 v[179:180], v[96:97], s[18:19], -v[195:196]
	v_add_f64_e32 v[183:184], v[185:186], v[183:184]
	v_fma_f64 v[185:186], v[96:97], s[18:19], v[195:196]
	s_delay_alu instid0(VALU_DEP_3) | instskip(SKIP_1) | instid1(VALU_DEP_3)
	v_add_f64_e32 v[172:173], v[179:180], v[172:173]
	v_fma_f64 v[179:180], v[98:99], s[18:19], v[197:198]
	v_add_f64_e32 v[181:182], v[185:186], v[181:182]
	v_fma_f64 v[185:186], v[98:99], s[18:19], -v[197:198]
	s_delay_alu instid0(VALU_DEP_3) | instskip(SKIP_1) | instid1(VALU_DEP_3)
	v_add_f64_e32 v[177:178], v[179:180], v[177:178]
	v_fma_f64 v[179:180], v[88:89], s[22:23], -v[199:200]
	v_add_f64_e32 v[183:184], v[185:186], v[183:184]
	v_fma_f64 v[185:186], v[88:89], s[22:23], v[199:200]
	s_delay_alu instid0(VALU_DEP_3) | instskip(SKIP_1) | instid1(VALU_DEP_3)
	v_add_f64_e32 v[172:173], v[179:180], v[172:173]
	v_fma_f64 v[179:180], v[90:91], s[22:23], v[201:202]
	v_add_f64_e32 v[181:182], v[185:186], v[181:182]
	v_fma_f64 v[185:186], v[90:91], s[22:23], -v[201:202]
	s_delay_alu instid0(VALU_DEP_3) | instskip(SKIP_1) | instid1(VALU_DEP_3)
	v_add_f64_e32 v[177:178], v[179:180], v[177:178]
	v_fma_f64 v[179:180], v[84:85], s[2:3], -v[221:222]
	v_add_f64_e32 v[183:184], v[185:186], v[183:184]
	v_fma_f64 v[185:186], v[84:85], s[2:3], v[221:222]
	s_delay_alu instid0(VALU_DEP_3) | instskip(SKIP_1) | instid1(VALU_DEP_3)
	v_add_f64_e32 v[172:173], v[179:180], v[172:173]
	v_fma_f64 v[179:180], v[86:87], s[2:3], v[223:224]
	v_add_f64_e32 v[181:182], v[185:186], v[181:182]
	v_fma_f64 v[185:186], v[86:87], s[2:3], -v[223:224]
	s_delay_alu instid0(VALU_DEP_3) | instskip(SKIP_1) | instid1(VALU_DEP_3)
	v_add_f64_e32 v[179:180], v[179:180], v[177:178]
	v_fma_f64 v[177:178], v[80:81], s[20:21], -v[225:226]
	v_add_f64_e32 v[183:184], v[185:186], v[183:184]
	v_fma_f64 v[185:186], v[80:81], s[20:21], v[225:226]
	s_delay_alu instid0(VALU_DEP_3) | instskip(SKIP_1) | instid1(VALU_DEP_3)
	v_add_f64_e32 v[177:178], v[177:178], v[172:173]
	v_mul_f64_e32 v[172:173], s[44:45], v[92:93]
	v_add_f64_e32 v[181:182], v[185:186], v[181:182]
	s_delay_alu instid0(VALU_DEP_2) | instskip(SKIP_1) | instid1(VALU_DEP_2)
	v_fma_f64 v[227:228], v[82:83], s[20:21], v[172:173]
	v_fma_f64 v[172:173], v[82:83], s[20:21], -v[172:173]
	v_add_f64_e32 v[179:180], v[227:228], v[179:180]
	s_delay_alu instid0(VALU_DEP_2) | instskip(SKIP_1) | instid1(VALU_DEP_1)
	v_add_f64_e32 v[183:184], v[172:173], v[183:184]
	v_mul_f64_e32 v[172:173], s[44:45], v[138:139]
	v_fma_f64 v[185:186], v[118:119], s[20:21], -v[172:173]
	v_fma_f64 v[172:173], v[118:119], s[20:21], v[172:173]
	s_delay_alu instid0(VALU_DEP_2) | instskip(NEXT) | instid1(VALU_DEP_2)
	v_add_f64_e32 v[185:186], v[185:186], v[205:206]
	v_add_f64_e32 v[172:173], v[172:173], v[209:210]
	s_delay_alu instid0(VALU_DEP_2) | instskip(SKIP_1) | instid1(VALU_DEP_3)
	v_add_f64_e32 v[185:186], v[193:194], v[185:186]
	v_mul_f64_e32 v[193:194], s[40:41], v[132:133]
	v_add_f64_e32 v[172:173], v[191:192], v[172:173]
	s_delay_alu instid0(VALU_DEP_2) | instskip(SKIP_1) | instid1(VALU_DEP_2)
	v_fma_f64 v[195:196], v[114:115], s[18:19], v[193:194]
	v_fma_f64 v[191:192], v[114:115], s[18:19], -v[193:194]
	v_add_f64_e32 v[187:188], v[195:196], v[187:188]
	v_mul_f64_e32 v[195:196], s[52:53], v[130:131]
	s_delay_alu instid0(VALU_DEP_3) | instskip(NEXT) | instid1(VALU_DEP_2)
	v_add_f64_e32 v[189:190], v[191:192], v[189:190]
	v_fma_f64 v[197:198], v[104:105], s[12:13], -v[195:196]
	v_fma_f64 v[191:192], v[104:105], s[12:13], v[195:196]
	s_delay_alu instid0(VALU_DEP_2) | instskip(SKIP_1) | instid1(VALU_DEP_3)
	v_add_f64_e32 v[185:186], v[197:198], v[185:186]
	v_mul_f64_e32 v[197:198], s[52:53], v[128:129]
	v_add_f64_e32 v[172:173], v[191:192], v[172:173]
	s_delay_alu instid0(VALU_DEP_2) | instskip(SKIP_3) | instid1(VALU_DEP_4)
	v_fma_f64 v[199:200], v[106:107], s[12:13], v[197:198]
	v_fma_f64 v[191:192], v[106:107], s[12:13], -v[197:198]
	v_mul_f64_e32 v[197:198], s[48:49], v[136:137]
	v_mul_f64_e32 v[136:137], s[30:31], v[136:137]
	v_add_f64_e32 v[187:188], v[199:200], v[187:188]
	v_mul_f64_e32 v[199:200], s[10:11], v[122:123]
	v_add_f64_e32 v[189:190], v[191:192], v[189:190]
	v_fma_f64 v[195:196], v[120:121], s[26:27], v[197:198]
	v_fma_f64 v[197:198], v[120:121], s[26:27], -v[197:198]
	s_delay_alu instid0(VALU_DEP_4)
	v_fma_f64 v[201:202], v[96:97], s[26:27], -v[199:200]
	v_fma_f64 v[191:192], v[96:97], s[26:27], v[199:200]
	v_mul_f64_e32 v[199:200], s[28:29], v[134:135]
	v_add_f64_e32 v[195:196], v[195:196], v[211:212]
	v_add_f64_e32 v[197:198], v[197:198], v[219:220]
	v_mul_f64_e32 v[134:135], s[16:17], v[134:135]
	v_add_f64_e32 v[185:186], v[201:202], v[185:186]
	v_mul_f64_e32 v[201:202], s[10:11], v[116:117]
	v_add_f64_e32 v[172:173], v[191:192], v[172:173]
	s_delay_alu instid0(VALU_DEP_2) | instskip(SKIP_3) | instid1(VALU_DEP_4)
	v_fma_f64 v[203:204], v[98:99], s[26:27], v[201:202]
	v_fma_f64 v[191:192], v[98:99], s[26:27], -v[201:202]
	v_fma_f64 v[201:202], v[112:113], s[6:7], -v[199:200]
	v_fma_f64 v[199:200], v[112:113], s[6:7], v[199:200]
	v_add_f64_e32 v[187:188], v[203:204], v[187:188]
	v_mul_f64_e32 v[203:204], s[34:35], v[110:111]
	v_add_f64_e32 v[189:190], v[191:192], v[189:190]
	s_delay_alu instid0(VALU_DEP_2) | instskip(SKIP_1) | instid1(VALU_DEP_2)
	v_fma_f64 v[205:206], v[88:89], s[2:3], -v[203:204]
	v_fma_f64 v[191:192], v[88:89], s[2:3], v[203:204]
	v_add_f64_e32 v[185:186], v[205:206], v[185:186]
	v_mul_f64_e32 v[205:206], s[34:35], v[108:109]
	s_delay_alu instid0(VALU_DEP_3) | instskip(NEXT) | instid1(VALU_DEP_2)
	v_add_f64_e32 v[172:173], v[191:192], v[172:173]
	v_fma_f64 v[207:208], v[90:91], s[2:3], v[205:206]
	v_fma_f64 v[191:192], v[90:91], s[2:3], -v[205:206]
	s_delay_alu instid0(VALU_DEP_2) | instskip(SKIP_1) | instid1(VALU_DEP_3)
	v_add_f64_e32 v[187:188], v[207:208], v[187:188]
	v_mul_f64_e32 v[207:208], s[50:51], v[102:103]
	v_add_f64_e32 v[189:190], v[191:192], v[189:190]
	s_delay_alu instid0(VALU_DEP_2) | instskip(SKIP_1) | instid1(VALU_DEP_2)
	v_fma_f64 v[221:222], v[84:85], s[22:23], -v[207:208]
	v_fma_f64 v[191:192], v[84:85], s[22:23], v[207:208]
	v_add_f64_e32 v[185:186], v[221:222], v[185:186]
	v_mul_f64_e32 v[221:222], s[50:51], v[100:101]
	s_delay_alu instid0(VALU_DEP_3) | instskip(NEXT) | instid1(VALU_DEP_2)
	v_add_f64_e32 v[172:173], v[191:192], v[172:173]
	v_fma_f64 v[223:224], v[86:87], s[22:23], v[221:222]
	v_fma_f64 v[191:192], v[86:87], s[22:23], -v[221:222]
	s_delay_alu instid0(VALU_DEP_2) | instskip(SKIP_1) | instid1(VALU_DEP_3)
	v_add_f64_e32 v[187:188], v[223:224], v[187:188]
	v_mul_f64_e32 v[223:224], s[24:25], v[94:95]
	v_add_f64_e32 v[191:192], v[191:192], v[189:190]
	s_delay_alu instid0(VALU_DEP_2) | instskip(SKIP_1) | instid1(VALU_DEP_2)
	v_fma_f64 v[225:226], v[80:81], s[14:15], -v[223:224]
	v_fma_f64 v[189:190], v[80:81], s[14:15], v[223:224]
	v_add_f64_e32 v[185:186], v[225:226], v[185:186]
	v_mul_f64_e32 v[225:226], s[24:25], v[92:93]
	s_delay_alu instid0(VALU_DEP_3) | instskip(SKIP_2) | instid1(VALU_DEP_4)
	v_add_f64_e32 v[189:190], v[189:190], v[172:173]
	v_mul_f64_e32 v[172:173], s[48:49], v[138:139]
	v_mul_f64_e32 v[138:139], s[30:31], v[138:139]
	v_fma_f64 v[193:194], v[82:83], s[14:15], -v[225:226]
	v_fma_f64 v[227:228], v[82:83], s[14:15], v[225:226]
	s_delay_alu instid0(VALU_DEP_2) | instskip(SKIP_2) | instid1(VALU_DEP_4)
	v_add_f64_e32 v[191:192], v[193:194], v[191:192]
	v_fma_f64 v[193:194], v[118:119], s[26:27], -v[172:173]
	v_fma_f64 v[172:173], v[118:119], s[26:27], v[172:173]
	v_add_f64_e32 v[187:188], v[227:228], v[187:188]
	s_delay_alu instid0(VALU_DEP_3) | instskip(NEXT) | instid1(VALU_DEP_3)
	v_add_f64_e32 v[193:194], v[193:194], v[215:216]
	v_add_f64_e32 v[172:173], v[172:173], v[217:218]
	s_delay_alu instid0(VALU_DEP_2) | instskip(SKIP_1) | instid1(VALU_DEP_3)
	v_add_f64_e32 v[193:194], v[201:202], v[193:194]
	v_mul_f64_e32 v[201:202], s[28:29], v[132:133]
	v_add_f64_e32 v[172:173], v[199:200], v[172:173]
	v_mul_f64_e32 v[132:133], s[16:17], v[132:133]
	s_delay_alu instid0(VALU_DEP_3) | instskip(SKIP_1) | instid1(VALU_DEP_2)
	v_fma_f64 v[203:204], v[114:115], s[6:7], v[201:202]
	v_fma_f64 v[199:200], v[114:115], s[6:7], -v[201:202]
	v_add_f64_e32 v[195:196], v[203:204], v[195:196]
	v_mul_f64_e32 v[203:204], s[50:51], v[130:131]
	s_delay_alu instid0(VALU_DEP_3) | instskip(SKIP_1) | instid1(VALU_DEP_3)
	v_add_f64_e32 v[197:198], v[199:200], v[197:198]
	v_mul_f64_e32 v[130:131], s[40:41], v[130:131]
	v_fma_f64 v[205:206], v[104:105], s[22:23], -v[203:204]
	v_fma_f64 v[199:200], v[104:105], s[22:23], v[203:204]
	s_delay_alu instid0(VALU_DEP_2) | instskip(SKIP_1) | instid1(VALU_DEP_3)
	v_add_f64_e32 v[193:194], v[205:206], v[193:194]
	v_mul_f64_e32 v[205:206], s[50:51], v[128:129]
	v_add_f64_e32 v[172:173], v[199:200], v[172:173]
	v_mul_f64_e32 v[128:129], s[40:41], v[128:129]
	s_delay_alu instid0(VALU_DEP_3) | instskip(SKIP_1) | instid1(VALU_DEP_2)
	v_fma_f64 v[207:208], v[106:107], s[22:23], v[205:206]
	v_fma_f64 v[199:200], v[106:107], s[22:23], -v[205:206]
	v_add_f64_e32 v[195:196], v[207:208], v[195:196]
	v_mul_f64_e32 v[207:208], s[36:37], v[122:123]
	s_delay_alu instid0(VALU_DEP_3) | instskip(SKIP_1) | instid1(VALU_DEP_3)
	v_add_f64_e32 v[197:198], v[199:200], v[197:198]
	v_mul_f64_e32 v[122:123], s[24:25], v[122:123]
	v_fma_f64 v[209:210], v[96:97], s[12:13], -v[207:208]
	v_fma_f64 v[199:200], v[96:97], s[12:13], v[207:208]
	;; [unrolled: 15-line block ×4, first 2 shown]
	s_delay_alu instid0(VALU_DEP_2) | instskip(SKIP_1) | instid1(VALU_DEP_3)
	v_add_f64_e32 v[193:194], v[221:222], v[193:194]
	v_mul_f64_e32 v[221:222], s[24:25], v[100:101]
	v_add_f64_e32 v[172:173], v[199:200], v[172:173]
	v_mul_f64_e32 v[100:101], s[28:29], v[100:101]
	s_delay_alu instid0(VALU_DEP_3) | instskip(SKIP_1) | instid1(VALU_DEP_2)
	v_fma_f64 v[223:224], v[86:87], s[14:15], v[221:222]
	v_fma_f64 v[199:200], v[86:87], s[14:15], -v[221:222]
	v_add_f64_e32 v[195:196], v[223:224], v[195:196]
	v_mul_f64_e32 v[223:224], s[54:55], v[94:95]
	s_delay_alu instid0(VALU_DEP_3) | instskip(NEXT) | instid1(VALU_DEP_2)
	v_add_f64_e32 v[199:200], v[199:200], v[197:198]
	v_fma_f64 v[197:198], v[80:81], s[18:19], v[223:224]
	v_fma_f64 v[225:226], v[80:81], s[18:19], -v[223:224]
	s_delay_alu instid0(VALU_DEP_2) | instskip(SKIP_2) | instid1(VALU_DEP_4)
	v_add_f64_e32 v[197:198], v[197:198], v[172:173]
	v_fma_f64 v[172:173], v[118:119], s[22:23], v[138:139]
	v_fma_f64 v[118:119], v[118:119], s[22:23], -v[138:139]
	v_add_f64_e32 v[193:194], v[225:226], v[193:194]
	v_mul_f64_e32 v[225:226], s[54:55], v[92:93]
	s_delay_alu instid0(VALU_DEP_4)
	v_add_f64_e32 v[146:147], v[172:173], v[146:147]
	v_fma_f64 v[172:173], v[120:121], s[22:23], -v[136:137]
	v_fma_f64 v[120:121], v[120:121], s[22:23], v[136:137]
	v_add_f64_e32 v[118:119], v[118:119], v[140:141]
	v_fma_f64 v[201:202], v[82:83], s[18:19], -v[225:226]
	v_fma_f64 v[227:228], v[82:83], s[18:19], v[225:226]
	v_add_f64_e32 v[144:145], v[172:173], v[144:145]
	v_fma_f64 v[172:173], v[112:113], s[20:21], v[134:135]
	v_fma_f64 v[112:113], v[112:113], s[20:21], -v[134:135]
	v_add_f64_e32 v[120:121], v[120:121], v[142:143]
	v_add_f64_e32 v[199:200], v[201:202], v[199:200]
	v_mul_f64_e32 v[201:202], s[34:35], v[92:93]
	v_add_f64_e32 v[195:196], v[227:228], v[195:196]
	v_add_f64_e32 v[146:147], v[172:173], v[146:147]
	v_fma_f64 v[172:173], v[114:115], s[20:21], -v[132:133]
	v_fma_f64 v[114:115], v[114:115], s[20:21], v[132:133]
	v_add_f64_e32 v[112:113], v[112:113], v[118:119]
	s_delay_alu instid0(VALU_DEP_3) | instskip(SKIP_3) | instid1(VALU_DEP_3)
	v_add_f64_e32 v[144:145], v[172:173], v[144:145]
	v_fma_f64 v[172:173], v[104:105], s[18:19], v[130:131]
	v_fma_f64 v[104:105], v[104:105], s[18:19], -v[130:131]
	v_add_f64_e32 v[114:115], v[114:115], v[120:121]
	v_add_f64_e32 v[146:147], v[172:173], v[146:147]
	v_fma_f64 v[172:173], v[106:107], s[18:19], -v[128:129]
	v_fma_f64 v[106:107], v[106:107], s[18:19], v[128:129]
	v_add_f64_e32 v[104:105], v[104:105], v[112:113]
	s_delay_alu instid0(VALU_DEP_3) | instskip(SKIP_3) | instid1(VALU_DEP_3)
	v_add_f64_e32 v[144:145], v[172:173], v[144:145]
	v_fma_f64 v[172:173], v[96:97], s[14:15], v[122:123]
	v_fma_f64 v[96:97], v[96:97], s[14:15], -v[122:123]
	;; [unrolled: 9-line block ×4, first 2 shown]
	v_add_f64_e32 v[90:91], v[90:91], v[98:99]
	v_add_f64_e32 v[146:147], v[172:173], v[146:147]
	v_fma_f64 v[172:173], v[86:87], s[6:7], -v[100:101]
	v_fma_f64 v[86:87], v[86:87], s[6:7], v[100:101]
	v_add_f64_e32 v[84:85], v[84:85], v[88:89]
	s_delay_alu instid0(VALU_DEP_3) | instskip(SKIP_4) | instid1(VALU_DEP_4)
	v_add_f64_e32 v[144:145], v[172:173], v[144:145]
	v_mul_f64_e32 v[172:173], s[34:35], v[94:95]
	v_fma_f64 v[94:95], v[82:83], s[2:3], -v[201:202]
	v_fma_f64 v[82:83], v[82:83], s[2:3], v[201:202]
	v_add_f64_e32 v[86:87], v[86:87], v[90:91]
	v_fma_f64 v[92:93], v[80:81], s[2:3], v[172:173]
	v_fma_f64 v[80:81], v[80:81], s[2:3], -v[172:173]
	v_add_f64_e32 v[94:95], v[94:95], v[144:145]
	s_delay_alu instid0(VALU_DEP_4) | instskip(NEXT) | instid1(VALU_DEP_4)
	v_add_f64_e32 v[82:83], v[82:83], v[86:87]
	v_add_f64_e32 v[92:93], v[92:93], v[146:147]
	s_delay_alu instid0(VALU_DEP_4) | instskip(SKIP_1) | instid1(VALU_DEP_1)
	v_add_f64_e32 v[80:81], v[80:81], v[84:85]
	v_mul_u32_u24_e32 v84, 0x110, v124
	v_add3_u32 v84, 0, v84, v176
	ds_store_b128 v84, v[76:79] offset:32
	ds_store_b128 v84, v[148:151] offset:48
	;; [unrolled: 1-line block ×16, first 2 shown]
	ds_store_b128 v84, v[72:75]
	v_cmpx_gt_u32_e32 7, v124
	s_cbranch_execz .LBB0_18
; %bb.17:
	v_add_f64_e32 v[70:71], v[0:1], v[4:5]
	v_add_f64_e32 v[68:69], v[2:3], v[6:7]
	;; [unrolled: 1-line block ×3, first 2 shown]
	s_delay_alu instid0(VALU_DEP_3) | instskip(NEXT) | instid1(VALU_DEP_3)
	v_add_f64_e32 v[70:71], v[70:71], v[8:9]
	v_add_f64_e32 v[68:69], v[68:69], v[10:11]
	s_delay_alu instid0(VALU_DEP_3)
	v_mul_f64_e32 v[164:165], s[22:23], v[98:99]
	v_mul_f64_e32 v[193:194], s[18:19], v[98:99]
	;; [unrolled: 1-line block ×4, first 2 shown]
	v_add_f64_e32 v[70:71], v[70:71], v[20:21]
	v_add_f64_e32 v[68:69], v[68:69], v[22:23]
	s_delay_alu instid0(VALU_DEP_2) | instskip(NEXT) | instid1(VALU_DEP_2)
	v_add_f64_e32 v[70:71], v[70:71], v[28:29]
	v_add_f64_e32 v[68:69], v[68:69], v[30:31]
	s_delay_alu instid0(VALU_DEP_2) | instskip(NEXT) | instid1(VALU_DEP_2)
	;; [unrolled: 3-line block ×5, first 2 shown]
	v_add_f64_e32 v[74:75], v[70:71], v[64:65]
	v_add_f64_e32 v[72:73], v[68:69], v[66:67]
	;; [unrolled: 1-line block ×3, first 2 shown]
	v_add_f64_e64 v[70:71], v[66:67], -v[62:63]
	v_add_f64_e64 v[66:67], v[64:65], -v[60:61]
	v_add_f64_e32 v[64:65], v[64:65], v[60:61]
	v_add_f64_e32 v[74:75], v[74:75], v[60:61]
	;; [unrolled: 1-line block ×4, first 2 shown]
	v_add_f64_e64 v[60:61], v[58:59], -v[54:55]
	v_add_f64_e64 v[58:59], v[56:57], -v[52:53]
	v_add_f64_e32 v[56:57], v[56:57], v[52:53]
	v_mul_f64_e32 v[156:157], s[54:55], v[70:71]
	v_mul_f64_e32 v[154:155], s[18:19], v[68:69]
	;; [unrolled: 1-line block ×10, first 2 shown]
	v_add_f64_e32 v[74:75], v[74:75], v[52:53]
	v_add_f64_e32 v[72:73], v[72:73], v[54:55]
	;; [unrolled: 1-line block ×3, first 2 shown]
	v_add_f64_e64 v[52:53], v[50:51], -v[46:47]
	v_add_f64_e64 v[50:51], v[48:49], -v[44:45]
	v_add_f64_e32 v[48:49], v[48:49], v[44:45]
	v_mul_f64_e32 v[158:159], s[34:35], v[60:61]
	v_mul_f64_e32 v[185:186], s[6:7], v[62:63]
	;; [unrolled: 1-line block ×7, first 2 shown]
	v_add_f64_e32 v[74:75], v[74:75], v[44:45]
	v_add_f64_e32 v[72:73], v[72:73], v[46:47]
	;; [unrolled: 1-line block ×3, first 2 shown]
	v_add_f64_e64 v[44:45], v[38:39], -v[42:43]
	v_add_f64_e64 v[38:39], v[36:37], -v[40:41]
	v_add_f64_e32 v[36:37], v[36:37], v[40:41]
	v_mul_f64_e32 v[181:182], s[12:13], v[54:55]
	v_mul_f64_e32 v[183:184], s[36:37], v[52:53]
	;; [unrolled: 1-line block ×7, first 2 shown]
	v_add_f64_e32 v[74:75], v[74:75], v[40:41]
	v_add_f64_e32 v[72:73], v[72:73], v[42:43]
	;; [unrolled: 1-line block ×3, first 2 shown]
	v_add_f64_e64 v[40:41], v[30:31], -v[34:35]
	v_add_f64_e64 v[30:31], v[28:29], -v[32:33]
	v_add_f64_e32 v[28:29], v[28:29], v[32:33]
	v_mul_f64_e32 v[177:178], s[14:15], v[46:47]
	v_mul_f64_e32 v[179:180], s[24:25], v[44:45]
	;; [unrolled: 1-line block ×5, first 2 shown]
	v_add_f64_e32 v[74:75], v[74:75], v[32:33]
	v_add_f64_e32 v[72:73], v[72:73], v[34:35]
	;; [unrolled: 1-line block ×3, first 2 shown]
	v_add_f64_e64 v[32:33], v[22:23], -v[26:27]
	v_add_f64_e64 v[22:23], v[20:21], -v[24:25]
	v_add_f64_e32 v[20:21], v[20:21], v[24:25]
	v_mul_f64_e32 v[170:171], s[18:19], v[42:43]
	v_mul_f64_e32 v[172:173], s[40:41], v[40:41]
	;; [unrolled: 1-line block ×5, first 2 shown]
	v_add_f64_e32 v[74:75], v[74:75], v[24:25]
	v_add_f64_e32 v[76:77], v[72:73], v[26:27]
	v_add_f64_e64 v[72:73], v[10:11], -v[18:19]
	v_add_f64_e64 v[24:25], v[8:9], -v[16:17]
	v_add_f64_e32 v[26:27], v[8:9], v[16:17]
	v_mul_f64_e32 v[168:169], s[16:17], v[32:33]
	v_mul_f64_e32 v[197:198], s[12:13], v[34:35]
	;; [unrolled: 1-line block ×4, first 2 shown]
	v_add_f64_e32 v[10:11], v[74:75], v[16:17]
	v_add_f64_e32 v[16:17], v[6:7], v[14:15]
	;; [unrolled: 1-line block ×3, first 2 shown]
	v_add_f64_e64 v[74:75], v[4:5], -v[12:13]
	v_add_f64_e32 v[76:77], v[4:5], v[12:13]
	v_add_f64_e64 v[18:19], v[6:7], -v[14:15]
	v_mul_f64_e32 v[166:167], s[30:31], v[72:73]
	v_mul_f64_e32 v[195:196], s[40:41], v[72:73]
	;; [unrolled: 1-line block ×4, first 2 shown]
	v_add_f64_e32 v[136:137], v[10:11], v[12:13]
	v_mul_f64_e32 v[12:13], s[12:13], v[16:17]
	v_add_f64_e32 v[138:139], v[8:9], v[14:15]
	v_mul_f64_e32 v[14:15], s[14:15], v[16:17]
	v_mul_f64_e32 v[78:79], s[18:19], v[16:17]
	;; [unrolled: 1-line block ×13, first 2 shown]
	v_fma_f64 v[88:89], v[74:75], s[52:53], v[12:13]
	v_fma_f64 v[12:13], v[74:75], s[36:37], v[12:13]
	;; [unrolled: 1-line block ×18, first 2 shown]
	v_mul_f64_e32 v[74:75], s[34:35], v[18:19]
	v_mul_f64_e32 v[18:19], s[10:11], v[18:19]
	v_fma_f64 v[116:117], v[76:77], s[6:7], v[102:103]
	v_fma_f64 v[102:103], v[76:77], s[6:7], -v[102:103]
	v_fma_f64 v[118:119], v[76:77], s[12:13], v[104:105]
	v_fma_f64 v[104:105], v[76:77], s[12:13], -v[104:105]
	v_fma_f64 v[106:107], v[76:77], s[14:15], -v[106:107]
	;; [unrolled: 1-line block ×4, first 2 shown]
	v_fma_f64 v[110:111], v[76:77], s[20:21], v[110:111]
	v_fma_f64 v[130:131], v[76:77], s[22:23], -v[112:113]
	v_fma_f64 v[112:113], v[76:77], s[22:23], v[112:113]
	v_add_f64_e32 v[88:89], v[2:3], v[88:89]
	v_add_f64_e32 v[4:5], v[2:3], v[12:13]
	v_mul_f64_e32 v[12:13], s[48:49], v[72:73]
	v_add_f64_e32 v[84:85], v[2:3], v[84:85]
	v_add_f64_e32 v[8:9], v[2:3], v[8:9]
	;; [unrolled: 1-line block ×6, first 2 shown]
	v_mul_f64_e32 v[10:11], s[26:27], v[98:99]
	v_mul_f64_e32 v[14:15], s[6:7], v[34:35]
	v_fma_f64 v[114:115], v[76:77], s[2:3], v[74:75]
	v_fma_f64 v[74:75], v[76:77], s[2:3], -v[74:75]
	v_fma_f64 v[132:133], v[76:77], s[26:27], -v[18:19]
	v_fma_f64 v[76:77], v[76:77], s[26:27], v[18:19]
	v_add_f64_e32 v[116:117], v[0:1], v[116:117]
	v_add_f64_e32 v[102:103], v[0:1], v[102:103]
	;; [unrolled: 1-line block ×7, first 2 shown]
	scratch_store_b64 off, v[4:5], off offset:64 ; 8-byte Folded Spill
	v_add_f64_e32 v[4:5], v[2:3], v[90:91]
	v_add_f64_e32 v[90:91], v[2:3], v[94:95]
	;; [unrolled: 1-line block ×7, first 2 shown]
	scratch_store_b64 off, v[4:5], off offset:56 ; 8-byte Folded Spill
	v_add_f64_e32 v[4:5], v[0:1], v[120:121]
	scratch_store_b64 off, v[4:5], off offset:48 ; 8-byte Folded Spill
	v_add_f64_e32 v[4:5], v[2:3], v[92:93]
	v_add_f64_e32 v[92:93], v[2:3], v[96:97]
	;; [unrolled: 1-line block ×4, first 2 shown]
	scratch_store_b64 off, v[4:5], off offset:40 ; 8-byte Folded Spill
	v_add_f64_e32 v[4:5], v[0:1], v[122:123]
	scratch_store_b64 off, v[4:5], off offset:32 ; 8-byte Folded Spill
	v_add_f64_e32 v[4:5], v[2:3], v[82:83]
	v_add_f64_e32 v[2:3], v[2:3], v[16:17]
	scratch_store_b64 off, v[4:5], off offset:24 ; 8-byte Folded Spill
	v_add_f64_e32 v[4:5], v[0:1], v[112:113]
	v_add_f64_e32 v[0:1], v[0:1], v[76:77]
	v_fma_f64 v[76:77], v[22:23], s[38:39], v[14:15]
	scratch_store_b64 off, v[2:3], off offset:8 ; 8-byte Folded Spill
	v_fma_f64 v[2:3], v[26:27], s[26:27], v[12:13]
	s_clause 0x1
	scratch_store_b64 off, v[4:5], off offset:16
	scratch_store_b64 off, v[0:1], off
	v_fma_f64 v[0:1], v[24:25], s[10:11], v[10:11]
	v_fma_f64 v[10:11], v[24:25], s[48:49], v[10:11]
	v_mul_f64_e32 v[4:5], s[12:13], v[62:63]
	v_add_f64_e32 v[2:3], v[2:3], v[114:115]
	s_delay_alu instid0(VALU_DEP_4) | instskip(NEXT) | instid1(VALU_DEP_4)
	v_add_f64_e32 v[0:1], v[0:1], v[84:85]
	v_add_f64_e32 v[8:9], v[10:11], v[8:9]
	v_fma_f64 v[10:11], v[26:27], s[26:27], -v[12:13]
	v_fma_f64 v[12:13], v[22:23], s[28:29], v[14:15]
	v_fma_f64 v[14:15], v[64:65], s[18:19], -v[156:157]
	v_add_f64_e32 v[0:1], v[76:77], v[0:1]
	v_mul_f64_e32 v[76:77], s[28:29], v[32:33]
	v_add_f64_e32 v[10:11], v[10:11], v[74:75]
	v_add_f64_e32 v[8:9], v[12:13], v[8:9]
	v_mul_f64_e32 v[74:75], s[20:21], v[98:99]
	s_delay_alu instid0(VALU_DEP_4) | instskip(SKIP_2) | instid1(VALU_DEP_3)
	v_fma_f64 v[78:79], v[20:21], s[6:7], v[76:77]
	v_fma_f64 v[12:13], v[20:21], s[6:7], -v[76:77]
	v_mul_f64_e32 v[76:77], s[44:45], v[72:73]
	v_add_f64_e32 v[2:3], v[78:79], v[2:3]
	v_mul_f64_e32 v[78:79], s[22:23], v[42:43]
	s_delay_alu instid0(VALU_DEP_4) | instskip(NEXT) | instid1(VALU_DEP_2)
	v_add_f64_e32 v[10:11], v[12:13], v[10:11]
	v_fma_f64 v[80:81], v[30:31], s[30:31], v[78:79]
	v_fma_f64 v[12:13], v[30:31], s[50:51], v[78:79]
	v_mul_f64_e32 v[78:79], s[18:19], v[34:35]
	s_delay_alu instid0(VALU_DEP_3) | instskip(SKIP_1) | instid1(VALU_DEP_4)
	v_add_f64_e32 v[0:1], v[80:81], v[0:1]
	v_mul_f64_e32 v[80:81], s[50:51], v[40:41]
	v_add_f64_e32 v[8:9], v[12:13], v[8:9]
	s_delay_alu instid0(VALU_DEP_2) | instskip(SKIP_3) | instid1(VALU_DEP_4)
	v_fma_f64 v[82:83], v[28:29], s[22:23], v[80:81]
	v_fma_f64 v[12:13], v[28:29], s[22:23], -v[80:81]
	v_fma_f64 v[80:81], v[22:23], s[54:55], v[78:79]
	v_fma_f64 v[78:79], v[22:23], s[40:41], v[78:79]
	v_add_f64_e32 v[2:3], v[82:83], v[2:3]
	v_mul_f64_e32 v[82:83], s[12:13], v[46:47]
	v_add_f64_e32 v[10:11], v[12:13], v[10:11]
	s_delay_alu instid0(VALU_DEP_2) | instskip(SKIP_1) | instid1(VALU_DEP_2)
	v_fma_f64 v[84:85], v[38:39], s[52:53], v[82:83]
	v_fma_f64 v[12:13], v[38:39], s[36:37], v[82:83]
	v_add_f64_e32 v[0:1], v[84:85], v[0:1]
	v_mul_f64_e32 v[84:85], s[36:37], v[44:45]
	s_delay_alu instid0(VALU_DEP_3) | instskip(NEXT) | instid1(VALU_DEP_2)
	v_add_f64_e32 v[8:9], v[12:13], v[8:9]
	v_fma_f64 v[114:115], v[36:37], s[12:13], v[84:85]
	v_fma_f64 v[12:13], v[36:37], s[12:13], -v[84:85]
	s_delay_alu instid0(VALU_DEP_2) | instskip(SKIP_1) | instid1(VALU_DEP_3)
	v_add_f64_e32 v[2:3], v[114:115], v[2:3]
	v_mul_f64_e32 v[114:115], s[20:21], v[54:55]
	v_add_f64_e32 v[10:11], v[12:13], v[10:11]
	s_delay_alu instid0(VALU_DEP_2) | instskip(SKIP_1) | instid1(VALU_DEP_2)
	v_fma_f64 v[146:147], v[50:51], s[16:17], v[114:115]
	v_fma_f64 v[12:13], v[50:51], s[44:45], v[114:115]
	v_add_f64_e32 v[0:1], v[146:147], v[0:1]
	v_mul_f64_e32 v[146:147], s[44:45], v[52:53]
	s_delay_alu instid0(VALU_DEP_3) | instskip(NEXT) | instid1(VALU_DEP_2)
	v_add_f64_e32 v[8:9], v[12:13], v[8:9]
	v_fma_f64 v[148:149], v[48:49], s[20:21], v[146:147]
	v_fma_f64 v[12:13], v[48:49], s[20:21], -v[146:147]
	s_delay_alu instid0(VALU_DEP_2) | instskip(SKIP_1) | instid1(VALU_DEP_3)
	v_add_f64_e32 v[2:3], v[148:149], v[2:3]
	v_mul_f64_e32 v[148:149], s[14:15], v[62:63]
	v_add_f64_e32 v[10:11], v[12:13], v[10:11]
	s_delay_alu instid0(VALU_DEP_2) | instskip(SKIP_1) | instid1(VALU_DEP_2)
	v_fma_f64 v[150:151], v[58:59], s[42:43], v[148:149]
	v_fma_f64 v[12:13], v[58:59], s[24:25], v[148:149]
	v_add_f64_e32 v[0:1], v[150:151], v[0:1]
	v_mul_f64_e32 v[150:151], s[24:25], v[60:61]
	s_delay_alu instid0(VALU_DEP_3) | instskip(NEXT) | instid1(VALU_DEP_2)
	v_add_f64_e32 v[8:9], v[12:13], v[8:9]
	v_fma_f64 v[12:13], v[56:57], s[14:15], -v[150:151]
	v_fma_f64 v[152:153], v[56:57], s[14:15], v[150:151]
	s_delay_alu instid0(VALU_DEP_2) | instskip(NEXT) | instid1(VALU_DEP_2)
	v_add_f64_e32 v[12:13], v[12:13], v[10:11]
	v_add_f64_e32 v[152:153], v[152:153], v[2:3]
	v_fma_f64 v[2:3], v[66:67], s[40:41], v[154:155]
	v_fma_f64 v[10:11], v[66:67], s[54:55], v[154:155]
	v_mul_f64_e32 v[154:155], s[14:15], v[68:69]
	v_add_f64_e32 v[110:111], v[14:15], v[12:13]
	v_fma_f64 v[12:13], v[24:25], s[16:17], v[74:75]
	v_fma_f64 v[14:15], v[26:27], s[20:21], v[76:77]
	;; [unrolled: 1-line block ×3, first 2 shown]
	v_fma_f64 v[76:77], v[26:27], s[20:21], -v[76:77]
	v_add_f64_e32 v[122:123], v[2:3], v[0:1]
	v_fma_f64 v[0:1], v[64:65], s[18:19], v[156:157]
	v_mul_f64_e32 v[156:157], s[24:25], v[70:71]
	v_add_f64_e32 v[112:113], v[10:11], v[8:9]
	v_mul_f64_e32 v[8:9], s[16:17], v[44:45]
	v_mul_f64_e32 v[2:3], s[52:53], v[60:61]
	v_add_f64_e32 v[12:13], v[12:13], v[86:87]
	v_add_f64_e32 v[14:15], v[14:15], v[116:117]
	;; [unrolled: 1-line block ×4, first 2 shown]
	v_mul_f64_e32 v[102:103], s[14:15], v[98:99]
	v_mul_f64_e32 v[134:135], s[6:7], v[42:43]
	v_add_f64_e32 v[120:121], v[0:1], v[152:153]
	v_mul_f64_e32 v[0:1], s[22:23], v[68:69]
	v_mul_f64_e32 v[68:69], s[12:13], v[68:69]
	v_add_f64_e32 v[12:13], v[80:81], v[12:13]
	v_mul_f64_e32 v[80:81], s[40:41], v[32:33]
	v_add_f64_e32 v[74:75], v[78:79], v[74:75]
	v_fma_f64 v[10:11], v[66:67], s[50:51], v[0:1]
	v_fma_f64 v[0:1], v[66:67], s[30:31], v[0:1]
	s_delay_alu instid0(VALU_DEP_4) | instskip(SKIP_2) | instid1(VALU_DEP_3)
	v_fma_f64 v[82:83], v[20:21], s[18:19], v[80:81]
	v_fma_f64 v[78:79], v[20:21], s[18:19], -v[80:81]
	v_fma_f64 v[80:81], v[64:65], s[14:15], -v[156:157]
	v_add_f64_e32 v[14:15], v[82:83], v[14:15]
	v_mul_f64_e32 v[82:83], s[12:13], v[42:43]
	s_delay_alu instid0(VALU_DEP_4) | instskip(NEXT) | instid1(VALU_DEP_2)
	v_add_f64_e32 v[76:77], v[78:79], v[76:77]
	v_fma_f64 v[84:85], v[30:31], s[36:37], v[82:83]
	v_fma_f64 v[78:79], v[30:31], s[52:53], v[82:83]
	s_delay_alu instid0(VALU_DEP_2) | instskip(SKIP_1) | instid1(VALU_DEP_3)
	v_add_f64_e32 v[12:13], v[84:85], v[12:13]
	v_mul_f64_e32 v[84:85], s[52:53], v[40:41]
	v_add_f64_e32 v[74:75], v[78:79], v[74:75]
	s_delay_alu instid0(VALU_DEP_2) | instskip(SKIP_2) | instid1(VALU_DEP_3)
	v_fma_f64 v[86:87], v[28:29], s[12:13], v[84:85]
	v_fma_f64 v[78:79], v[28:29], s[12:13], -v[84:85]
	v_fma_f64 v[84:85], v[26:27], s[22:23], -v[166:167]
	v_add_f64_e32 v[14:15], v[86:87], v[14:15]
	v_mul_f64_e32 v[86:87], s[26:27], v[46:47]
	s_delay_alu instid0(VALU_DEP_4) | instskip(NEXT) | instid1(VALU_DEP_4)
	v_add_f64_e32 v[76:77], v[78:79], v[76:77]
	v_add_f64_e32 v[84:85], v[84:85], v[100:101]
	v_mul_f64_e32 v[100:101], s[20:21], v[34:35]
	s_delay_alu instid0(VALU_DEP_4) | instskip(SKIP_1) | instid1(VALU_DEP_3)
	v_fma_f64 v[114:115], v[38:39], s[48:49], v[86:87]
	v_fma_f64 v[78:79], v[38:39], s[10:11], v[86:87]
	;; [unrolled: 1-line block ×3, first 2 shown]
	s_delay_alu instid0(VALU_DEP_3) | instskip(SKIP_1) | instid1(VALU_DEP_4)
	v_add_f64_e32 v[12:13], v[114:115], v[12:13]
	v_mul_f64_e32 v[114:115], s[10:11], v[44:45]
	v_add_f64_e32 v[74:75], v[78:79], v[74:75]
	s_delay_alu instid0(VALU_DEP_2) | instskip(SKIP_2) | instid1(VALU_DEP_3)
	v_fma_f64 v[116:117], v[36:37], s[26:27], v[114:115]
	v_fma_f64 v[78:79], v[36:37], s[26:27], -v[114:115]
	v_mul_f64_e32 v[114:115], s[42:43], v[72:73]
	v_add_f64_e32 v[14:15], v[116:117], v[14:15]
	v_mul_f64_e32 v[116:117], s[2:3], v[54:55]
	s_delay_alu instid0(VALU_DEP_4) | instskip(NEXT) | instid1(VALU_DEP_2)
	v_add_f64_e32 v[76:77], v[78:79], v[76:77]
	v_fma_f64 v[146:147], v[50:51], s[46:47], v[116:117]
	v_fma_f64 v[78:79], v[50:51], s[34:35], v[116:117]
	v_mul_f64_e32 v[116:117], s[26:27], v[34:35]
	s_delay_alu instid0(VALU_DEP_3) | instskip(SKIP_1) | instid1(VALU_DEP_4)
	v_add_f64_e32 v[12:13], v[146:147], v[12:13]
	v_mul_f64_e32 v[146:147], s[34:35], v[52:53]
	v_add_f64_e32 v[74:75], v[78:79], v[74:75]
	s_delay_alu instid0(VALU_DEP_4) | instskip(NEXT) | instid1(VALU_DEP_3)
	v_fma_f64 v[82:83], v[22:23], s[48:49], v[116:117]
	v_fma_f64 v[148:149], v[48:49], s[2:3], v[146:147]
	v_fma_f64 v[78:79], v[48:49], s[2:3], -v[146:147]
	v_mul_f64_e32 v[146:147], s[28:29], v[40:41]
	s_delay_alu instid0(VALU_DEP_3) | instskip(SKIP_1) | instid1(VALU_DEP_4)
	v_add_f64_e32 v[14:15], v[148:149], v[14:15]
	v_mul_f64_e32 v[148:149], s[22:23], v[62:63]
	v_add_f64_e32 v[76:77], v[78:79], v[76:77]
	s_delay_alu instid0(VALU_DEP_2) | instskip(SKIP_2) | instid1(VALU_DEP_3)
	v_fma_f64 v[150:151], v[58:59], s[30:31], v[148:149]
	v_fma_f64 v[78:79], v[58:59], s[50:51], v[148:149]
	v_mul_f64_e32 v[148:149], s[18:19], v[46:47]
	v_add_f64_e32 v[12:13], v[150:151], v[12:13]
	v_mul_f64_e32 v[150:151], s[50:51], v[60:61]
	s_delay_alu instid0(VALU_DEP_4) | instskip(SKIP_1) | instid1(VALU_DEP_3)
	v_add_f64_e32 v[74:75], v[78:79], v[74:75]
	v_mul_f64_e32 v[60:61], s[10:11], v[60:61]
	v_fma_f64 v[78:79], v[56:57], s[22:23], -v[150:151]
	v_fma_f64 v[152:153], v[56:57], s[22:23], v[150:151]
	v_mul_f64_e32 v[150:151], s[54:55], v[44:45]
	v_mul_f64_e32 v[44:45], s[34:35], v[44:45]
	s_delay_alu instid0(VALU_DEP_4)
	v_add_f64_e32 v[78:79], v[78:79], v[76:77]
	v_fma_f64 v[76:77], v[66:67], s[24:25], v[154:155]
	v_add_f64_e32 v[152:153], v[152:153], v[14:15]
	v_fma_f64 v[14:15], v[66:67], s[42:43], v[154:155]
	v_mul_f64_e32 v[154:155], s[30:31], v[52:53]
	v_mul_f64_e32 v[52:53], s[54:55], v[52:53]
	v_add_f64_e32 v[76:77], v[76:77], v[74:75]
	v_add_f64_e32 v[74:75], v[80:81], v[78:79]
	v_fma_f64 v[78:79], v[24:25], s[24:25], v[102:103]
	v_fma_f64 v[80:81], v[26:27], s[14:15], v[114:115]
	v_add_f64_e32 v[106:107], v[14:15], v[12:13]
	v_fma_f64 v[12:13], v[64:65], s[14:15], v[156:157]
	v_mul_f64_e32 v[156:157], s[2:3], v[62:63]
	v_mul_f64_e32 v[62:63], s[26:27], v[62:63]
	v_add_f64_e32 v[78:79], v[78:79], v[88:89]
	v_add_f64_e32 v[80:81], v[80:81], v[118:119]
	v_mul_f64_e32 v[118:119], s[10:11], v[32:33]
	v_add_f64_e32 v[104:105], v[12:13], v[152:153]
	v_mul_f64_e32 v[152:153], s[22:23], v[54:55]
	v_fma_f64 v[88:89], v[26:27], s[18:19], -v[195:196]
	v_dual_mov_b32 v12, v229 :: v_dual_mov_b32 v13, v230
	v_mul_f64_e32 v[229:230], s[42:43], v[40:41]
	v_mov_b32_e32 v14, v231
	v_mul_f64_e32 v[231:232], s[22:23], v[46:47]
	v_mul_f64_e32 v[54:55], s[18:19], v[54:55]
	v_add_f64_e32 v[78:79], v[82:83], v[78:79]
	v_fma_f64 v[82:83], v[20:21], s[26:27], v[118:119]
	v_add_f64_e32 v[88:89], v[88:89], v[96:97]
	s_delay_alu instid0(VALU_DEP_2) | instskip(SKIP_1) | instid1(VALU_DEP_1)
	v_add_f64_e32 v[80:81], v[82:83], v[80:81]
	v_fma_f64 v[82:83], v[30:31], s[38:39], v[134:135]
	v_add_f64_e32 v[78:79], v[82:83], v[78:79]
	v_fma_f64 v[82:83], v[28:29], s[6:7], v[146:147]
	s_delay_alu instid0(VALU_DEP_1) | instskip(SKIP_1) | instid1(VALU_DEP_1)
	v_add_f64_e32 v[80:81], v[82:83], v[80:81]
	v_fma_f64 v[82:83], v[38:39], s[40:41], v[148:149]
	v_add_f64_e32 v[78:79], v[82:83], v[78:79]
	v_fma_f64 v[82:83], v[36:37], s[18:19], v[150:151]
	s_delay_alu instid0(VALU_DEP_1) | instskip(SKIP_1) | instid1(VALU_DEP_1)
	;; [unrolled: 5-line block ×5, first 2 shown]
	v_add_f64_e32 v[78:79], v[78:79], v[82:83]
	v_fma_f64 v[82:83], v[24:25], s[30:31], v[164:165]
	v_add_f64_e32 v[82:83], v[82:83], v[94:95]
	s_delay_alu instid0(VALU_DEP_1) | instskip(SKIP_1) | instid1(VALU_DEP_1)
	v_add_f64_e32 v[82:83], v[86:87], v[82:83]
	v_fma_f64 v[86:87], v[20:21], s[20:21], -v[168:169]
	v_add_f64_e32 v[84:85], v[86:87], v[84:85]
	v_fma_f64 v[86:87], v[30:31], s[40:41], v[170:171]
	s_delay_alu instid0(VALU_DEP_1) | instskip(SKIP_1) | instid1(VALU_DEP_1)
	v_add_f64_e32 v[82:83], v[86:87], v[82:83]
	v_fma_f64 v[86:87], v[28:29], s[18:19], -v[172:173]
	v_add_f64_e32 v[84:85], v[86:87], v[84:85]
	v_fma_f64 v[86:87], v[38:39], s[24:25], v[177:178]
	s_delay_alu instid0(VALU_DEP_1) | instskip(SKIP_1) | instid1(VALU_DEP_1)
	v_add_f64_e32 v[82:83], v[86:87], v[82:83]
	v_fma_f64 v[86:87], v[36:37], s[14:15], -v[179:180]
	v_add_f64_e32 v[84:85], v[86:87], v[84:85]
	v_fma_f64 v[86:87], v[50:51], s[36:37], v[181:182]
	s_delay_alu instid0(VALU_DEP_1) | instskip(SKIP_1) | instid1(VALU_DEP_1)
	v_add_f64_e32 v[82:83], v[86:87], v[82:83]
	v_fma_f64 v[86:87], v[48:49], s[12:13], -v[183:184]
	v_add_f64_e32 v[84:85], v[86:87], v[84:85]
	v_fma_f64 v[86:87], v[58:59], s[28:29], v[185:186]
	s_delay_alu instid0(VALU_DEP_1) | instskip(SKIP_1) | instid1(VALU_DEP_1)
	v_add_f64_e32 v[82:83], v[86:87], v[82:83]
	v_fma_f64 v[86:87], v[56:57], s[6:7], -v[187:188]
	v_add_f64_e32 v[86:87], v[86:87], v[84:85]
	v_fma_f64 v[84:85], v[66:67], s[34:35], v[189:190]
	s_delay_alu instid0(VALU_DEP_1) | instskip(SKIP_1) | instid1(VALU_DEP_1)
	v_add_f64_e32 v[84:85], v[84:85], v[82:83]
	v_fma_f64 v[82:83], v[64:65], s[2:3], -v[191:192]
	v_add_f64_e32 v[82:83], v[82:83], v[86:87]
	v_fma_f64 v[86:87], v[24:25], s[40:41], v[193:194]
	s_delay_alu instid0(VALU_DEP_1) | instskip(SKIP_1) | instid1(VALU_DEP_1)
	v_add_f64_e32 v[86:87], v[86:87], v[92:93]
	v_fma_f64 v[92:93], v[22:23], s[36:37], v[197:198]
	v_add_f64_e32 v[86:87], v[92:93], v[86:87]
	v_fma_f64 v[92:93], v[20:21], s[12:13], -v[199:200]
	s_delay_alu instid0(VALU_DEP_1) | instskip(SKIP_1) | instid1(VALU_DEP_1)
	v_add_f64_e32 v[88:89], v[92:93], v[88:89]
	v_fma_f64 v[92:93], v[30:31], s[34:35], v[201:202]
	v_add_f64_e32 v[86:87], v[92:93], v[86:87]
	v_fma_f64 v[92:93], v[28:29], s[2:3], -v[203:204]
	;; [unrolled: 5-line block ×7, first 2 shown]
	s_delay_alu instid0(VALU_DEP_1) | instskip(SKIP_1) | instid1(VALU_DEP_1)
	v_add_f64_e32 v[92:93], v[92:93], v[128:129]
	v_mul_f64_e32 v[128:129], s[2:3], v[34:35]
	v_fma_f64 v[94:95], v[22:23], s[46:47], v[128:129]
	s_delay_alu instid0(VALU_DEP_1) | instskip(SKIP_1) | instid1(VALU_DEP_1)
	v_add_f64_e32 v[90:91], v[94:95], v[90:91]
	v_fma_f64 v[94:95], v[20:21], s[2:3], -v[225:226]
	v_add_f64_e32 v[92:93], v[94:95], v[92:93]
	v_fma_f64 v[94:95], v[30:31], s[42:43], v[227:228]
	s_delay_alu instid0(VALU_DEP_1) | instskip(SKIP_1) | instid1(VALU_DEP_1)
	v_add_f64_e32 v[90:91], v[94:95], v[90:91]
	v_fma_f64 v[94:95], v[28:29], s[14:15], -v[229:230]
	v_add_f64_e32 v[92:93], v[94:95], v[92:93]
	;; [unrolled: 5-line block ×6, first 2 shown]
	v_fma_f64 v[94:95], v[24:25], s[34:35], v[247:248]
	s_delay_alu instid0(VALU_DEP_1) | instskip(SKIP_2) | instid1(VALU_DEP_2)
	v_add_f64_e32 v[94:95], v[94:95], v[144:145]
	v_mul_f64_e32 v[144:145], s[34:35], v[72:73]
	v_mul_f64_e32 v[72:73], s[38:39], v[72:73]
	v_fma_f64 v[96:97], v[26:27], s[2:3], -v[144:145]
	s_delay_alu instid0(VALU_DEP_1) | instskip(SKIP_1) | instid1(VALU_DEP_1)
	v_add_f64_e32 v[96:97], v[96:97], v[108:109]
	v_mul_f64_e32 v[108:109], s[14:15], v[34:35]
	v_fma_f64 v[249:250], v[22:23], s[42:43], v[108:109]
	s_delay_alu instid0(VALU_DEP_1) | instskip(SKIP_1) | instid1(VALU_DEP_1)
	v_add_f64_e32 v[94:95], v[249:250], v[94:95]
	v_mul_f64_e32 v[249:250], s[42:43], v[32:33]
	v_fma_f64 v[251:252], v[20:21], s[14:15], -v[249:250]
	s_delay_alu instid0(VALU_DEP_1) | instskip(SKIP_2) | instid1(VALU_DEP_2)
	v_add_f64_e32 v[96:97], v[251:252], v[96:97]
	v_mul_f64_e32 v[251:252], s[26:27], v[42:43]
	v_mul_f64_e32 v[42:43], s[20:21], v[42:43]
	v_fma_f64 v[253:254], v[30:31], s[48:49], v[251:252]
	s_delay_alu instid0(VALU_DEP_1) | instskip(SKIP_2) | instid1(VALU_DEP_2)
	v_add_f64_e32 v[94:95], v[253:254], v[94:95]
	v_mul_f64_e32 v[253:254], s[48:49], v[40:41]
	v_mul_f64_e32 v[40:41], s[16:17], v[40:41]
	v_fma_f64 v[126:127], v[28:29], s[26:27], -v[253:254]
	s_delay_alu instid0(VALU_DEP_1) | instskip(SKIP_2) | instid1(VALU_DEP_2)
	v_add_f64_e32 v[96:97], v[126:127], v[96:97]
	v_mul_f64_e32 v[126:127], s[20:21], v[46:47]
	v_mul_f64_e32 v[46:47], s[2:3], v[46:47]
	v_fma_f64 v[16:17], v[38:39], s[16:17], v[126:127]
	s_delay_alu instid0(VALU_DEP_1) | instskip(SKIP_2) | instid1(VALU_DEP_2)
	v_add_f64_e32 v[16:17], v[16:17], v[94:95]
	v_fma_f64 v[94:95], v[36:37], s[20:21], -v[8:9]
	v_fma_f64 v[8:9], v[36:37], s[20:21], v[8:9]
	v_add_f64_e32 v[94:95], v[94:95], v[96:97]
	v_fma_f64 v[96:97], v[50:51], s[28:29], v[174:175]
	s_delay_alu instid0(VALU_DEP_1) | instskip(SKIP_2) | instid1(VALU_DEP_2)
	v_add_f64_e32 v[16:17], v[96:97], v[16:17]
	v_fma_f64 v[96:97], v[48:49], s[6:7], -v[6:7]
	v_fma_f64 v[6:7], v[48:49], s[6:7], v[6:7]
	v_add_f64_e32 v[94:95], v[96:97], v[94:95]
	v_fma_f64 v[96:97], v[58:59], s[52:53], v[4:5]
	v_fma_f64 v[4:5], v[58:59], s[36:37], v[4:5]
	s_delay_alu instid0(VALU_DEP_2) | instskip(SKIP_2) | instid1(VALU_DEP_2)
	v_add_f64_e32 v[16:17], v[96:97], v[16:17]
	v_fma_f64 v[96:97], v[56:57], s[12:13], -v[2:3]
	v_fma_f64 v[2:3], v[56:57], s[12:13], v[2:3]
	v_add_f64_e32 v[94:95], v[96:97], v[94:95]
	s_delay_alu instid0(VALU_DEP_4) | instskip(SKIP_2) | instid1(VALU_DEP_2)
	v_add_f64_e32 v[96:97], v[10:11], v[16:17]
	v_mul_f64_e32 v[10:11], s[50:51], v[70:71]
	v_mul_f64_e32 v[70:71], s[36:37], v[70:71]
	v_fma_f64 v[16:17], v[64:65], s[22:23], -v[10:11]
	s_delay_alu instid0(VALU_DEP_1) | instskip(SKIP_1) | instid1(VALU_DEP_1)
	v_add_f64_e32 v[94:95], v[16:17], v[94:95]
	v_mul_f64_e32 v[16:17], s[6:7], v[98:99]
	v_fma_f64 v[98:99], v[24:25], s[38:39], v[16:17]
	v_fma_f64 v[16:17], v[24:25], s[28:29], v[16:17]
	s_delay_alu instid0(VALU_DEP_2) | instskip(SKIP_1) | instid1(VALU_DEP_1)
	v_add_f64_e32 v[98:99], v[98:99], v[140:141]
	v_fma_f64 v[140:141], v[26:27], s[6:7], -v[72:73]
	v_add_f64_e32 v[18:19], v[140:141], v[18:19]
	v_mul_f64_e32 v[140:141], s[22:23], v[34:35]
	s_delay_alu instid0(VALU_DEP_1) | instskip(NEXT) | instid1(VALU_DEP_1)
	v_fma_f64 v[34:35], v[22:23], s[50:51], v[140:141]
	v_add_f64_e32 v[34:35], v[34:35], v[98:99]
	v_mul_f64_e32 v[98:99], s[50:51], v[32:33]
	s_delay_alu instid0(VALU_DEP_1) | instskip(NEXT) | instid1(VALU_DEP_1)
	v_fma_f64 v[32:33], v[20:21], s[22:23], -v[98:99]
	v_add_f64_e32 v[18:19], v[32:33], v[18:19]
	v_fma_f64 v[32:33], v[30:31], s[16:17], v[42:43]
	v_fma_f64 v[42:43], v[30:31], s[44:45], v[42:43]
	s_delay_alu instid0(VALU_DEP_2) | instskip(SKIP_2) | instid1(VALU_DEP_2)
	v_add_f64_e32 v[32:33], v[32:33], v[34:35]
	v_fma_f64 v[34:35], v[28:29], s[20:21], -v[40:41]
	v_fma_f64 v[40:41], v[28:29], s[20:21], v[40:41]
	v_add_f64_e32 v[18:19], v[34:35], v[18:19]
	v_fma_f64 v[34:35], v[38:39], s[34:35], v[46:47]
	s_delay_alu instid0(VALU_DEP_1) | instskip(SKIP_1) | instid1(VALU_DEP_1)
	v_add_f64_e32 v[32:33], v[34:35], v[32:33]
	v_fma_f64 v[34:35], v[36:37], s[2:3], -v[44:45]
	v_add_f64_e32 v[18:19], v[34:35], v[18:19]
	v_fma_f64 v[34:35], v[50:51], s[54:55], v[54:55]
	s_delay_alu instid0(VALU_DEP_1) | instskip(SKIP_1) | instid1(VALU_DEP_1)
	v_add_f64_e32 v[32:33], v[34:35], v[32:33]
	v_fma_f64 v[34:35], v[48:49], s[18:19], -v[52:53]
	;; [unrolled: 5-line block ×4, first 2 shown]
	v_add_f64_e32 v[32:33], v[32:33], v[18:19]
	v_fma_f64 v[18:19], v[24:25], s[42:43], v[102:103]
	scratch_load_b64 v[102:103], off, off offset:64 th:TH_LOAD_LU ; 8-byte Folded Reload
	s_wait_loadcnt 0x0
	v_add_f64_e32 v[18:19], v[18:19], v[102:103]
	v_fma_f64 v[102:103], v[26:27], s[14:15], -v[114:115]
	v_fma_f64 v[114:115], v[22:23], s[10:11], v[116:117]
	s_delay_alu instid0(VALU_DEP_2) | instskip(NEXT) | instid1(VALU_DEP_2)
	v_add_f64_e32 v[102:103], v[102:103], v[142:143]
	v_add_f64_e32 v[18:19], v[114:115], v[18:19]
	v_fma_f64 v[114:115], v[20:21], s[26:27], -v[118:119]
	v_fma_f64 v[118:119], v[64:65], s[20:21], -v[162:163]
	s_delay_alu instid0(VALU_DEP_2) | instskip(SKIP_1) | instid1(VALU_DEP_1)
	v_add_f64_e32 v[102:103], v[114:115], v[102:103]
	v_fma_f64 v[114:115], v[30:31], s[28:29], v[134:135]
	v_add_f64_e32 v[18:19], v[114:115], v[18:19]
	v_fma_f64 v[114:115], v[28:29], s[6:7], -v[146:147]
	s_delay_alu instid0(VALU_DEP_1) | instskip(SKIP_1) | instid1(VALU_DEP_1)
	v_add_f64_e32 v[102:103], v[114:115], v[102:103]
	v_fma_f64 v[114:115], v[38:39], s[54:55], v[148:149]
	v_add_f64_e32 v[18:19], v[114:115], v[18:19]
	v_fma_f64 v[114:115], v[36:37], s[18:19], -v[150:151]
	s_delay_alu instid0(VALU_DEP_1) | instskip(SKIP_1) | instid1(VALU_DEP_1)
	;; [unrolled: 5-line block ×4, first 2 shown]
	v_add_f64_e32 v[102:103], v[114:115], v[102:103]
	v_fma_f64 v[114:115], v[66:67], s[44:45], v[160:161]
	v_add_f64_e32 v[116:117], v[114:115], v[18:19]
	scratch_load_b64 v[18:19], off, off offset:56 th:TH_LOAD_LU ; 8-byte Folded Reload
	v_add_f64_e32 v[114:115], v[118:119], v[102:103]
	s_wait_loadcnt 0x0
	v_add_f64_e32 v[16:17], v[16:17], v[18:19]
	v_fma_f64 v[18:19], v[26:27], s[6:7], v[72:73]
	scratch_load_b64 v[72:73], off, off offset:48 th:TH_LOAD_LU ; 8-byte Folded Reload
	s_wait_loadcnt 0x0
	v_add_f64_e32 v[18:19], v[18:19], v[72:73]
	v_fma_f64 v[72:73], v[22:23], s[30:31], v[140:141]
	s_delay_alu instid0(VALU_DEP_1) | instskip(SKIP_1) | instid1(VALU_DEP_2)
	v_add_f64_e32 v[16:17], v[72:73], v[16:17]
	v_fma_f64 v[72:73], v[20:21], s[22:23], v[98:99]
	v_add_f64_e32 v[16:17], v[42:43], v[16:17]
	s_delay_alu instid0(VALU_DEP_2) | instskip(SKIP_1) | instid1(VALU_DEP_2)
	v_add_f64_e32 v[18:19], v[72:73], v[18:19]
	v_fma_f64 v[42:43], v[64:65], s[12:13], v[70:71]
	v_add_f64_e32 v[18:19], v[40:41], v[18:19]
	v_fma_f64 v[40:41], v[38:39], s[46:47], v[46:47]
	s_delay_alu instid0(VALU_DEP_1) | instskip(SKIP_1) | instid1(VALU_DEP_1)
	v_add_f64_e32 v[16:17], v[40:41], v[16:17]
	v_fma_f64 v[40:41], v[36:37], s[2:3], v[44:45]
	v_add_f64_e32 v[18:19], v[40:41], v[18:19]
	v_fma_f64 v[40:41], v[50:51], s[40:41], v[54:55]
	s_delay_alu instid0(VALU_DEP_1) | instskip(SKIP_1) | instid1(VALU_DEP_1)
	;; [unrolled: 5-line block ×3, first 2 shown]
	v_add_f64_e32 v[16:17], v[40:41], v[16:17]
	v_fma_f64 v[40:41], v[56:57], s[26:27], v[60:61]
	v_add_f64_e32 v[18:19], v[40:41], v[18:19]
	v_fma_f64 v[40:41], v[66:67], s[52:53], v[68:69]
	s_delay_alu instid0(VALU_DEP_2)
	v_add_f64_e32 v[44:45], v[42:43], v[18:19]
	scratch_load_b64 v[18:19], off, off offset:40 th:TH_LOAD_LU ; 8-byte Folded Reload
	v_add_f64_e32 v[46:47], v[40:41], v[16:17]
	scratch_load_b64 v[40:41], off, off offset:32 th:TH_LOAD_LU ; 8-byte Folded Reload
	v_fma_f64 v[16:17], v[24:25], s[46:47], v[247:248]
	s_wait_loadcnt 0x1
	s_delay_alu instid0(VALU_DEP_1) | instskip(SKIP_1) | instid1(VALU_DEP_1)
	v_add_f64_e32 v[16:17], v[16:17], v[18:19]
	v_fma_f64 v[18:19], v[22:23], s[24:25], v[108:109]
	v_add_f64_e32 v[16:17], v[18:19], v[16:17]
	v_fma_f64 v[18:19], v[30:31], s[10:11], v[251:252]
	s_delay_alu instid0(VALU_DEP_1) | instskip(SKIP_1) | instid1(VALU_DEP_1)
	v_add_f64_e32 v[16:17], v[18:19], v[16:17]
	v_fma_f64 v[18:19], v[38:39], s[44:45], v[126:127]
	v_add_f64_e32 v[16:17], v[18:19], v[16:17]
	v_fma_f64 v[18:19], v[50:51], s[38:39], v[174:175]
	s_delay_alu instid0(VALU_DEP_1) | instskip(SKIP_1) | instid1(VALU_DEP_2)
	v_add_f64_e32 v[16:17], v[18:19], v[16:17]
	v_fma_f64 v[18:19], v[26:27], s[2:3], v[144:145]
	v_add_f64_e32 v[4:5], v[4:5], v[16:17]
	s_wait_loadcnt 0x0
	s_delay_alu instid0(VALU_DEP_2) | instskip(SKIP_1) | instid1(VALU_DEP_3)
	v_add_f64_e32 v[18:19], v[18:19], v[40:41]
	v_fma_f64 v[40:41], v[20:21], s[14:15], v[249:250]
	v_add_f64_e32 v[54:55], v[0:1], v[4:5]
	v_fma_f64 v[0:1], v[24:25], s[52:53], v[221:222]
	s_delay_alu instid0(VALU_DEP_3) | instskip(SKIP_2) | instid1(VALU_DEP_4)
	v_add_f64_e32 v[18:19], v[40:41], v[18:19]
	v_fma_f64 v[40:41], v[28:29], s[26:27], v[253:254]
	v_fma_f64 v[4:5], v[22:23], s[34:35], v[128:129]
	v_add_f64_e32 v[0:1], v[0:1], v[130:131]
	s_delay_alu instid0(VALU_DEP_3) | instskip(NEXT) | instid1(VALU_DEP_2)
	v_add_f64_e32 v[18:19], v[40:41], v[18:19]
	v_add_f64_e32 v[0:1], v[4:5], v[0:1]
	v_fma_f64 v[4:5], v[20:21], s[2:3], v[225:226]
	s_delay_alu instid0(VALU_DEP_3) | instskip(NEXT) | instid1(VALU_DEP_1)
	v_add_f64_e32 v[8:9], v[8:9], v[18:19]
	v_add_f64_e32 v[6:7], v[6:7], v[8:9]
	scratch_load_b64 v[8:9], off, off th:TH_LOAD_LU ; 8-byte Folded Reload
	v_add_f64_e32 v[2:3], v[2:3], v[6:7]
	v_fma_f64 v[6:7], v[64:65], s[22:23], v[10:11]
	s_delay_alu instid0(VALU_DEP_1) | instskip(SKIP_2) | instid1(VALU_DEP_2)
	v_add_f64_e32 v[52:53], v[6:7], v[2:3]
	v_fma_f64 v[2:3], v[26:27], s[12:13], v[223:224]
	v_fma_f64 v[6:7], v[64:65], s[6:7], v[245:246]
	v_add_f64_e32 v[2:3], v[2:3], v[132:133]
	s_delay_alu instid0(VALU_DEP_1) | instskip(SKIP_1) | instid1(VALU_DEP_1)
	v_add_f64_e32 v[2:3], v[4:5], v[2:3]
	v_fma_f64 v[4:5], v[30:31], s[24:25], v[227:228]
	v_add_f64_e32 v[0:1], v[4:5], v[0:1]
	v_fma_f64 v[4:5], v[28:29], s[14:15], v[229:230]
	v_dual_mov_b32 v230, v13 :: v_dual_mov_b32 v229, v12
	s_delay_alu instid0(VALU_DEP_2) | instskip(SKIP_2) | instid1(VALU_DEP_2)
	v_add_f64_e32 v[2:3], v[4:5], v[2:3]
	v_fma_f64 v[4:5], v[38:39], s[30:31], v[231:232]
	v_mov_b32_e32 v231, v14
	v_add_f64_e32 v[0:1], v[4:5], v[0:1]
	v_fma_f64 v[4:5], v[36:37], s[22:23], v[233:234]
	s_delay_alu instid0(VALU_DEP_1) | instskip(SKIP_1) | instid1(VALU_DEP_1)
	v_add_f64_e32 v[2:3], v[4:5], v[2:3]
	v_fma_f64 v[4:5], v[50:51], s[48:49], v[235:236]
	v_add_f64_e32 v[0:1], v[4:5], v[0:1]
	v_fma_f64 v[4:5], v[48:49], s[26:27], v[237:238]
	s_delay_alu instid0(VALU_DEP_1) | instskip(SKIP_1) | instid1(VALU_DEP_1)
	v_add_f64_e32 v[2:3], v[4:5], v[2:3]
	v_fma_f64 v[4:5], v[58:59], s[54:55], v[239:240]
	v_add_f64_e32 v[0:1], v[4:5], v[0:1]
	v_fma_f64 v[4:5], v[56:57], s[18:19], v[241:242]
	s_delay_alu instid0(VALU_DEP_1) | instskip(SKIP_1) | instid1(VALU_DEP_2)
	v_add_f64_e32 v[2:3], v[4:5], v[2:3]
	v_fma_f64 v[4:5], v[66:67], s[38:39], v[243:244]
	v_add_f64_e32 v[60:61], v[6:7], v[2:3]
	scratch_load_b64 v[2:3], off, off offset:24 th:TH_LOAD_LU ; 8-byte Folded Reload
	v_add_f64_e32 v[62:63], v[4:5], v[0:1]
	scratch_load_b64 v[4:5], off, off offset:16 th:TH_LOAD_LU ; 8-byte Folded Reload
	v_fma_f64 v[0:1], v[24:25], s[54:55], v[193:194]
	v_fma_f64 v[6:7], v[64:65], s[26:27], v[219:220]
	s_wait_loadcnt 0x1
	s_delay_alu instid0(VALU_DEP_2) | instskip(SKIP_2) | instid1(VALU_DEP_1)
	v_add_f64_e32 v[0:1], v[0:1], v[2:3]
	v_fma_f64 v[2:3], v[26:27], s[18:19], v[195:196]
	s_wait_loadcnt 0x0
	v_add_f64_e32 v[2:3], v[2:3], v[4:5]
	v_fma_f64 v[4:5], v[22:23], s[52:53], v[197:198]
	s_delay_alu instid0(VALU_DEP_1) | instskip(SKIP_1) | instid1(VALU_DEP_1)
	v_add_f64_e32 v[0:1], v[4:5], v[0:1]
	v_fma_f64 v[4:5], v[20:21], s[12:13], v[199:200]
	v_add_f64_e32 v[2:3], v[4:5], v[2:3]
	v_fma_f64 v[4:5], v[30:31], s[46:47], v[201:202]
	s_delay_alu instid0(VALU_DEP_1) | instskip(SKIP_1) | instid1(VALU_DEP_1)
	v_add_f64_e32 v[0:1], v[4:5], v[0:1]
	v_fma_f64 v[4:5], v[28:29], s[2:3], v[203:204]
	;; [unrolled: 5-line block ×5, first 2 shown]
	v_add_f64_e32 v[2:3], v[4:5], v[2:3]
	v_fma_f64 v[4:5], v[66:67], s[10:11], v[217:218]
	s_delay_alu instid0(VALU_DEP_2)
	v_add_f64_e32 v[68:69], v[6:7], v[2:3]
	scratch_load_b64 v[6:7], off, off offset:8 th:TH_LOAD_LU ; 8-byte Folded Reload
	v_add_f64_e32 v[70:71], v[4:5], v[0:1]
	v_fma_f64 v[0:1], v[24:25], s[50:51], v[164:165]
	v_fma_f64 v[2:3], v[26:27], s[22:23], v[166:167]
	;; [unrolled: 1-line block ×3, first 2 shown]
	s_delay_alu instid0(VALU_DEP_2) | instskip(SKIP_4) | instid1(VALU_DEP_2)
	v_add_f64_e32 v[2:3], v[2:3], v[8:9]
	v_fma_f64 v[8:9], v[30:31], s[54:55], v[170:171]
	s_wait_loadcnt 0x0
	v_add_f64_e32 v[0:1], v[0:1], v[6:7]
	v_fma_f64 v[6:7], v[20:21], s[20:21], v[168:169]
	v_add_f64_e32 v[0:1], v[4:5], v[0:1]
	v_fma_f64 v[4:5], v[28:29], s[18:19], v[172:173]
	s_delay_alu instid0(VALU_DEP_3) | instskip(SKIP_1) | instid1(VALU_DEP_4)
	v_add_f64_e32 v[2:3], v[6:7], v[2:3]
	v_fma_f64 v[6:7], v[38:39], s[42:43], v[177:178]
	v_add_f64_e32 v[0:1], v[8:9], v[0:1]
	v_fma_f64 v[8:9], v[36:37], s[14:15], v[179:180]
	s_delay_alu instid0(VALU_DEP_4) | instskip(SKIP_1) | instid1(VALU_DEP_4)
	v_add_f64_e32 v[2:3], v[4:5], v[2:3]
	v_fma_f64 v[4:5], v[50:51], s[52:53], v[181:182]
	v_add_f64_e32 v[0:1], v[6:7], v[0:1]
	v_fma_f64 v[6:7], v[48:49], s[12:13], v[183:184]
	s_delay_alu instid0(VALU_DEP_4) | instskip(SKIP_1) | instid1(VALU_DEP_4)
	;; [unrolled: 5-line block ×3, first 2 shown]
	v_add_f64_e32 v[2:3], v[6:7], v[2:3]
	v_fma_f64 v[6:7], v[66:67], s[46:47], v[189:190]
	v_add_f64_e32 v[0:1], v[8:9], v[0:1]
	v_fma_f64 v[8:9], v[64:65], s[2:3], v[191:192]
	s_delay_alu instid0(VALU_DEP_4) | instskip(NEXT) | instid1(VALU_DEP_3)
	v_add_f64_e32 v[2:3], v[4:5], v[2:3]
	v_add_f64_e32 v[18:19], v[6:7], v[0:1]
	v_add_nc_u32_e32 v0, 17, v124
	s_delay_alu instid0(VALU_DEP_3) | instskip(NEXT) | instid1(VALU_DEP_2)
	v_add_f64_e32 v[16:17], v[8:9], v[2:3]
	v_mul_u32_u24_e32 v0, 0x110, v0
	s_delay_alu instid0(VALU_DEP_1)
	v_add3_u32 v0, 0, v0, v176
	ds_store_b128 v0, v[136:139]
	ds_store_b128 v0, v[82:85] offset:16
	ds_store_b128 v0, v[86:89] offset:32
	;; [unrolled: 1-line block ×16, first 2 shown]
.LBB0_18:
	s_wait_alu 0xfffe
	s_or_b32 exec_lo, exec_lo, s1
	v_add_nc_u16 v2, v124, 34
	v_add_nc_u16 v3, v124, 51
	v_lshlrev_b32_e32 v128, 1, v124
	v_add_nc_u16 v4, v124, 0x44
	v_add_nc_u16 v6, v124, 0x55
	v_dual_mov_b32 v129, 0 :: v_dual_and_b32 v0, 0xff, v2
	v_and_b32_e32 v9, 0xff, v3
	s_delay_alu instid0(VALU_DEP_4) | instskip(SKIP_1) | instid1(VALU_DEP_4)
	v_and_b32_e32 v10, 0xff, v4
	v_add_nc_u16 v7, v124, 0x66
	v_mul_lo_u16 v0, 0xf1, v0
	v_and_b32_e32 v11, 0xff, v6
	v_mul_lo_u16 v9, 0xf1, v9
	v_mul_lo_u16 v10, 0xf1, v10
	v_add_nc_u16 v8, v124, 0x77
	v_lshrrev_b16 v5, 12, v0
	v_lshlrev_b64_e32 v[0:1], 4, v[128:129]
	v_lshrrev_b16 v9, 12, v9
	v_and_b32_e32 v12, 0xff, v7
	v_mul_lo_u16 v11, 0xf1, v11
	v_mul_lo_u16 v5, v5, 17
	v_lshrrev_b16 v10, 12, v10
	v_add_co_u32 v0, s0, s4, v0
	s_wait_alu 0xf1ff
	v_add_co_ci_u32_e64 v1, s0, s5, v1, s0
	v_sub_nc_u16 v2, v2, v5
	global_wb scope:SCOPE_SE
	s_wait_storecnt_dscnt 0x0
	s_barrier_signal -1
	s_barrier_wait -1
	global_inv scope:SCOPE_SE
	v_and_b32_e32 v5, 0xff, v8
	s_clause 0x1
	global_load_b128 v[182:185], v[0:1], off offset:16
	global_load_b128 v[186:189], v[0:1], off
	v_mul_lo_u16 v0, v9, 17
	v_and_b32_e32 v180, 0xff, v2
	v_mul_lo_u16 v2, 0xf1, v12
	v_mul_lo_u16 v1, v10, 17
	v_lshrrev_b16 v9, 12, v11
	v_sub_nc_u16 v0, v3, v0
	v_mul_lo_u16 v3, 0xf1, v5
	v_lshrrev_b16 v2, 12, v2
	v_sub_nc_u16 v1, v4, v1
	v_mul_lo_u16 v4, v9, 17
	v_and_b32_e32 v181, 0xff, v0
	v_lshrrev_b16 v0, 12, v3
	v_lshlrev_b32_e32 v12, 5, v180
	v_and_b32_e32 v128, 0xff, v1
	v_mul_lo_u16 v1, v2, 17
	v_sub_nc_u16 v2, v6, v4
	v_mul_lo_u16 v0, v0, 17
	v_lshlrev_b32_e32 v3, 5, v181
	s_clause 0x1
	global_load_b128 v[24:27], v12, s[4:5] offset:16
	global_load_b128 v[28:31], v12, s[4:5]
	v_sub_nc_u16 v1, v7, v1
	v_and_b32_e32 v177, 0xff, v2
	v_lshlrev_b32_e32 v4, 5, v128
	v_sub_nc_u16 v0, v8, v0
	s_clause 0x1
	global_load_b128 v[34:37], v3, s[4:5] offset:16
	global_load_b128 v[48:51], v3, s[4:5]
	v_and_b32_e32 v178, 0xff, v1
	v_lshlrev_b32_e32 v1, 5, v177
	s_clause 0x1
	global_load_b128 v[56:59], v4, s[4:5]
	global_load_b128 v[52:55], v4, s[4:5] offset:16
	v_and_b32_e32 v179, 0xff, v0
	s_clause 0x1
	global_load_b128 v[64:67], v1, s[4:5]
	global_load_b128 v[60:63], v1, s[4:5] offset:16
	v_lshlrev_b32_e32 v0, 5, v178
	v_lshlrev_b32_e32 v1, 5, v179
	s_clause 0x3
	global_load_b128 v[42:45], v0, s[4:5]
	global_load_b128 v[38:41], v0, s[4:5] offset:16
	global_load_b128 v[72:75], v1, s[4:5]
	global_load_b128 v[68:71], v1, s[4:5] offset:16
	ds_load_b128 v[170:173], v125 offset:2176
	ds_load_b128 v[190:193], v125 offset:4352
	ds_load_b128 v[20:23], v231
	ds_load_b128 v[16:19], v125 offset:272
	ds_load_b128 v[194:197], v125 offset:2448
	ds_load_b128 v[198:201], v125 offset:4624
	ds_load_b128 v[12:15], v125 offset:544
	ds_load_b128 v[4:7], v125 offset:816
	ds_load_b128 v[108:111], v125 offset:2720
	ds_load_b128 v[88:91], v125 offset:2992
	ds_load_b128 v[116:119], v125 offset:4896
	ds_load_b128 v[92:95], v125 offset:5168
	ds_load_b128 v[8:11], v125 offset:1088
	ds_load_b128 v[0:3], v125 offset:1360
	ds_load_b128 v[96:99], v125 offset:3264
	ds_load_b128 v[76:79], v125 offset:3536
	ds_load_b128 v[104:107], v125 offset:5440
	ds_load_b128 v[84:87], v125 offset:5712
	ds_load_b128 v[100:103], v125 offset:3808
	ds_load_b128 v[80:83], v125 offset:4080
	ds_load_b128 v[120:123], v125 offset:5984
	ds_load_b128 v[112:115], v125 offset:6256
	s_mov_b32 s0, 0xe8584caa
	s_mov_b32 s1, 0x3febb67a
	;; [unrolled: 1-line block ×3, first 2 shown]
	s_wait_alu 0xfffe
	s_mov_b32 s2, s0
	s_wait_loadcnt_dscnt 0xd14
	v_mul_f64_e32 v[202:203], v[192:193], v[184:185]
	s_wait_loadcnt 0xc
	v_mul_f64_e32 v[126:127], v[172:173], v[188:189]
	v_mul_f64_e32 v[174:175], v[170:171], v[188:189]
	;; [unrolled: 1-line block ×3, first 2 shown]
	s_wait_dscnt 0x11
	v_mul_f64_e32 v[206:207], v[196:197], v[188:189]
	v_mul_f64_e32 v[188:189], v[194:195], v[188:189]
	s_wait_dscnt 0x10
	v_mul_f64_e32 v[208:209], v[200:201], v[184:185]
	v_mul_f64_e32 v[184:185], v[198:199], v[184:185]
	s_wait_loadcnt_dscnt 0xb0b
	v_mul_f64_e32 v[152:153], v[118:119], v[26:27]
	s_wait_loadcnt 0xa
	v_mul_f64_e32 v[134:135], v[110:111], v[30:31]
	v_mul_f64_e32 v[130:131], v[108:109], v[30:31]
	;; [unrolled: 1-line block ×3, first 2 shown]
	s_wait_loadcnt_dscnt 0x90a
	v_mul_f64_e32 v[154:155], v[94:95], v[36:37]
	s_wait_loadcnt 0x8
	v_mul_f64_e32 v[138:139], v[90:91], v[50:51]
	v_mul_f64_e32 v[132:133], v[88:89], v[50:51]
	;; [unrolled: 1-line block ×3, first 2 shown]
	s_wait_loadcnt_dscnt 0x707
	v_mul_f64_e32 v[142:143], v[98:99], v[58:59]
	v_mul_f64_e32 v[58:59], v[96:97], v[58:59]
	s_wait_loadcnt_dscnt 0x605
	v_mul_f64_e32 v[156:157], v[106:107], v[54:55]
	v_mul_f64_e32 v[144:145], v[104:105], v[54:55]
	s_wait_loadcnt 0x5
	v_mul_f64_e32 v[146:147], v[78:79], v[66:67]
	v_mul_f64_e32 v[54:55], v[76:77], v[66:67]
	s_wait_loadcnt_dscnt 0x404
	v_mul_f64_e32 v[158:159], v[86:87], v[62:63]
	v_mul_f64_e32 v[66:67], v[84:85], v[62:63]
	s_wait_loadcnt_dscnt 0x303
	;; [unrolled: 3-line block ×3, first 2 shown]
	v_mul_f64_e32 v[160:161], v[122:123], v[40:41]
	v_mul_f64_e32 v[150:151], v[120:121], v[40:41]
	s_wait_loadcnt 0x1
	v_mul_f64_e32 v[162:163], v[82:83], v[74:75]
	v_mul_f64_e32 v[164:165], v[80:81], v[74:75]
	s_wait_loadcnt_dscnt 0x0
	v_mul_f64_e32 v[166:167], v[114:115], v[70:71]
	v_mul_f64_e32 v[168:169], v[112:113], v[70:71]
	v_fma_f64 v[70:71], v[170:171], v[186:187], -v[126:127]
	v_fma_f64 v[74:75], v[172:173], v[186:187], v[174:175]
	v_fma_f64 v[36:37], v[190:191], v[182:183], -v[202:203]
	v_fma_f64 v[26:27], v[192:193], v[182:183], v[204:205]
	v_fma_f64 v[170:171], v[194:195], v[186:187], -v[206:207]
	v_fma_f64 v[172:173], v[196:197], v[186:187], v[188:189]
	v_fma_f64 v[50:51], v[198:199], v[182:183], -v[208:209]
	v_fma_f64 v[40:41], v[200:201], v[182:183], v[184:185]
	v_mul_u32_u24_e32 v126, 7, v124
	ds_load_b128 v[44:47], v125 offset:1632
	ds_load_b128 v[30:33], v125 offset:1904
	v_lshlrev_b32_e32 v174, 4, v181
	global_wb scope:SCOPE_SE
	s_wait_dscnt 0x0
	s_barrier_signal -1
	v_fma_f64 v[116:117], v[116:117], v[24:25], -v[152:153]
	v_fma_f64 v[108:109], v[108:109], v[28:29], -v[134:135]
	v_fma_f64 v[28:29], v[110:111], v[28:29], v[130:131]
	v_fma_f64 v[24:25], v[118:119], v[24:25], v[136:137]
	s_barrier_wait -1
	v_fma_f64 v[92:93], v[92:93], v[34:35], -v[154:155]
	v_fma_f64 v[88:89], v[88:89], v[48:49], -v[138:139]
	v_fma_f64 v[48:49], v[90:91], v[48:49], v[132:133]
	v_fma_f64 v[34:35], v[94:95], v[34:35], v[140:141]
	v_fma_f64 v[90:91], v[96:97], v[56:57], -v[142:143]
	v_fma_f64 v[56:57], v[98:99], v[56:57], v[58:59]
	v_fma_f64 v[94:95], v[104:105], v[52:53], -v[156:157]
	;; [unrolled: 2-line block ×8, first 2 shown]
	v_fma_f64 v[68:69], v[114:115], v[68:69], v[168:169]
	v_add_f64_e32 v[80:81], v[20:21], v[70:71]
	v_add_f64_e32 v[86:87], v[22:23], v[74:75]
	;; [unrolled: 1-line block ×3, first 2 shown]
	v_add_f64_e64 v[84:85], v[74:75], -v[26:27]
	v_add_f64_e32 v[74:75], v[74:75], v[26:27]
	v_lshlrev_b32_e32 v168, 4, v126
	v_add_f64_e32 v[98:99], v[170:171], v[50:51]
	v_add_f64_e32 v[104:105], v[172:173], v[40:41]
	;; [unrolled: 1-line block ×4, first 2 shown]
	v_add_f64_e64 v[70:71], v[70:71], -v[36:37]
	v_add_f64_e64 v[100:101], v[172:173], -v[40:41]
	;; [unrolled: 1-line block ×3, first 2 shown]
	v_lshlrev_b32_e32 v169, 4, v180
	v_add_f64_e32 v[110:111], v[108:109], v[116:117]
	v_add_f64_e32 v[112:113], v[12:13], v[108:109]
	;; [unrolled: 1-line block ×3, first 2 shown]
	v_add_f64_e64 v[118:119], v[28:29], -v[24:25]
	v_add_f64_e32 v[28:29], v[14:15], v[28:29]
	v_add_f64_e32 v[120:121], v[88:89], v[92:93]
	;; [unrolled: 1-line block ×5, first 2 shown]
	v_add_f64_e64 v[134:135], v[48:49], -v[34:35]
	v_add_f64_e32 v[126:127], v[90:91], v[94:95]
	v_add_f64_e32 v[132:133], v[56:57], v[52:53]
	;; [unrolled: 1-line block ×6, first 2 shown]
	v_add_f64_e64 v[164:165], v[54:55], -v[60:61]
	v_add_f64_e32 v[158:159], v[46:47], v[42:43]
	v_add_f64_e32 v[140:141], v[64:65], v[66:67]
	;; [unrolled: 1-line block ×4, first 2 shown]
	v_add_f64_e64 v[166:167], v[58:59], -v[76:77]
	v_add_f64_e32 v[148:149], v[62:63], v[78:79]
	v_add_f64_e32 v[150:151], v[72:73], v[68:69]
	v_add_f64_e64 v[108:109], v[108:109], -v[116:117]
	v_add_f64_e32 v[156:157], v[44:45], v[64:65]
	v_fma_f64 v[82:83], v[82:83], -0.5, v[20:21]
	v_add_f64_e32 v[162:163], v[32:33], v[72:73]
	v_fma_f64 v[54:55], v[74:75], -0.5, v[22:23]
	v_add_f64_e64 v[146:147], v[56:57], -v[52:53]
	v_fma_f64 v[58:59], v[98:99], -0.5, v[16:17]
	v_fma_f64 v[74:75], v[104:105], -0.5, v[18:19]
	v_add_f64_e64 v[104:105], v[64:65], -v[66:67]
	v_add_f64_e32 v[56:57], v[10:11], v[56:57]
	v_add_f64_e64 v[88:89], v[88:89], -v[92:93]
	v_add_f64_e32 v[160:161], v[30:31], v[62:63]
	v_add_f64_e64 v[90:91], v[90:91], -v[94:95]
	v_add_f64_e64 v[98:99], v[42:43], -v[38:39]
	v_fma_f64 v[64:65], v[110:111], -0.5, v[12:13]
	v_add_f64_e64 v[110:111], v[72:73], -v[68:69]
	v_fma_f64 v[72:73], v[114:115], -0.5, v[14:15]
	v_add_f64_e64 v[114:115], v[62:63], -v[78:79]
	global_inv scope:SCOPE_SE
	v_fma_f64 v[62:63], v[120:121], -0.5, v[4:5]
	v_add_f64_e32 v[4:5], v[80:81], v[36:37]
	v_fma_f64 v[80:81], v[122:123], -0.5, v[6:7]
	v_add_f64_e32 v[6:7], v[86:87], v[26:27]
	v_add_f64_e32 v[12:13], v[130:131], v[92:93]
	v_fma_f64 v[86:87], v[126:127], -0.5, v[8:9]
	v_add_f64_e32 v[8:9], v[96:97], v[50:51]
	v_fma_f64 v[96:97], v[132:133], -0.5, v[10:11]
	v_add_f64_e32 v[10:11], v[102:103], v[40:41]
	v_fma_f64 v[102:103], v[136:137], -0.5, v[0:1]
	v_add_f64_e32 v[0:1], v[112:113], v[116:117]
	v_fma_f64 v[112:113], v[138:139], -0.5, v[2:3]
	v_add_f64_e32 v[16:17], v[142:143], v[94:95]
	v_fma_f64 v[116:117], v[140:141], -0.5, v[44:45]
	v_fma_f64 v[92:93], v[144:145], -0.5, v[46:47]
	v_add_f64_e32 v[14:15], v[48:49], v[34:35]
	v_add_f64_e32 v[26:27], v[158:159], v[38:39]
	v_fma_f64 v[120:121], v[148:149], -0.5, v[30:31]
	v_fma_f64 v[94:95], v[150:151], -0.5, v[32:33]
	v_add_f64_e32 v[2:3], v[28:29], v[24:25]
	v_add_f64_e32 v[22:23], v[154:155], v[60:61]
	v_fma_f64 v[32:33], v[84:85], s[0:1], v[82:83]
	s_wait_alu 0xfffe
	v_fma_f64 v[36:37], v[84:85], s[2:3], v[82:83]
	v_fma_f64 v[34:35], v[70:71], s[2:3], v[54:55]
	;; [unrolled: 1-line block ×7, first 2 shown]
	v_add_f64_e32 v[18:19], v[56:57], v[52:53]
	v_add_f64_e32 v[24:25], v[156:157], v[66:67]
	;; [unrolled: 1-line block ×4, first 2 shown]
	v_fma_f64 v[48:49], v[118:119], s[0:1], v[64:65]
	v_fma_f64 v[52:53], v[118:119], s[2:3], v[64:65]
	;; [unrolled: 1-line block ×4, first 2 shown]
	v_add_f64_e32 v[28:29], v[160:161], v[78:79]
	v_fma_f64 v[56:57], v[134:135], s[0:1], v[62:63]
	v_fma_f64 v[60:61], v[134:135], s[2:3], v[62:63]
	;; [unrolled: 1-line block ×4, first 2 shown]
	v_add3_u32 v100, 0, v169, v176
	v_fma_f64 v[64:65], v[146:147], s[0:1], v[86:87]
	v_fma_f64 v[68:69], v[146:147], s[2:3], v[86:87]
	;; [unrolled: 1-line block ×16, first 2 shown]
	v_lshlrev_b32_e32 v96, 4, v128
	v_lshlrev_b32_e32 v97, 4, v177
	;; [unrolled: 1-line block ×4, first 2 shown]
	v_add3_u32 v101, 0, v174, v176
	v_add3_u32 v96, 0, v96, v176
	;; [unrolled: 1-line block ×5, first 2 shown]
	ds_store_b128 v125, v[4:7]
	ds_store_b128 v125, v[32:35] offset:272
	ds_store_b128 v125, v[36:39] offset:544
	;; [unrolled: 1-line block ×23, first 2 shown]
	global_wb scope:SCOPE_SE
	s_wait_dscnt 0x0
	s_barrier_signal -1
	s_barrier_wait -1
	global_inv scope:SCOPE_SE
	s_clause 0x14
	global_load_b128 v[0:3], v168, s[4:5] offset:544
	global_load_b128 v[4:7], v168, s[4:5] offset:560
	;; [unrolled: 1-line block ×21, first 2 shown]
	ds_load_b128 v[84:87], v125 offset:816
	ds_load_b128 v[88:91], v125 offset:2448
	;; [unrolled: 1-line block ×22, first 2 shown]
	s_mov_b32 s0, 0x667f3bcd
	s_mov_b32 s1, 0xbfe6a09e
	;; [unrolled: 1-line block ×3, first 2 shown]
	s_wait_alu 0xfffe
	s_mov_b32 s2, s0
	s_wait_loadcnt_dscnt 0x1415
	v_mul_f64_e32 v[126:127], v[86:87], v[2:3]
	v_mul_f64_e32 v[2:3], v[84:85], v[2:3]
	s_wait_loadcnt_dscnt 0x1311
	v_mul_f64_e32 v[174:175], v[102:103], v[6:7]
	v_mul_f64_e32 v[6:7], v[100:101], v[6:7]
	s_wait_loadcnt 0x12
	v_mul_f64_e32 v[180:181], v[90:91], v[10:11]
	v_mul_f64_e32 v[10:11], v[88:89], v[10:11]
	s_wait_loadcnt_dscnt 0x110f
	v_mul_f64_e32 v[182:183], v[110:111], v[14:15]
	v_mul_f64_e32 v[14:15], v[108:109], v[14:15]
	s_wait_loadcnt 0x10
	;; [unrolled: 6-line block ×7, first 2 shown]
	v_mul_f64_e32 v[204:205], v[140:141], v[58:59]
	v_mul_f64_e32 v[58:59], v[138:139], v[58:59]
	s_wait_loadcnt 0x5
	v_mul_f64_e32 v[206:207], v[144:145], v[62:63]
	v_mul_f64_e32 v[62:63], v[142:143], v[62:63]
	s_wait_loadcnt 0x4
	;; [unrolled: 3-line block ×4, first 2 shown]
	v_mul_f64_e32 v[212:213], v[164:165], v[74:75]
	v_mul_f64_e32 v[74:75], v[162:163], v[74:75]
	v_fma_f64 v[84:85], v[84:85], v[0:1], -v[126:127]
	s_wait_loadcnt 0x1
	v_mul_f64_e32 v[126:127], v[168:169], v[78:79]
	v_mul_f64_e32 v[78:79], v[166:167], v[78:79]
	s_wait_loadcnt_dscnt 0x0
	v_mul_f64_e32 v[214:215], v[178:179], v[82:83]
	v_mul_f64_e32 v[82:83], v[176:177], v[82:83]
	v_fma_f64 v[86:87], v[86:87], v[0:1], v[2:3]
	v_fma_f64 v[100:101], v[100:101], v[4:5], -v[174:175]
	v_fma_f64 v[102:103], v[102:103], v[4:5], v[6:7]
	v_fma_f64 v[88:89], v[88:89], v[8:9], -v[180:181]
	;; [unrolled: 2-line block ×16, first 2 shown]
	v_fma_f64 v[68:69], v[156:157], v[68:69], v[70:71]
	ds_load_b128 v[0:3], v231
	ds_load_b128 v[4:7], v125 offset:272
	v_fma_f64 v[70:71], v[166:167], v[76:77], -v[126:127]
	v_fma_f64 v[76:77], v[168:169], v[76:77], v[78:79]
	v_fma_f64 v[78:79], v[162:163], v[72:73], -v[212:213]
	v_fma_f64 v[72:73], v[164:165], v[72:73], v[74:75]
	;; [unrolled: 2-line block ×4, first 2 shown]
	global_wb scope:SCOPE_SE
	s_wait_dscnt 0x0
	s_barrier_signal -1
	s_barrier_wait -1
	v_add_f64_e64 v[14:15], v[84:85], -v[14:15]
	v_add_f64_e64 v[16:17], v[86:87], -v[16:17]
	;; [unrolled: 1-line block ×6, first 2 shown]
	global_inv scope:SCOPE_SE
	v_add_f64_e64 v[10:11], v[0:1], -v[10:11]
	v_add_f64_e64 v[12:13], v[2:3], -v[12:13]
	;; [unrolled: 1-line block ×18, first 2 shown]
	v_fma_f64 v[84:85], v[84:85], 2.0, -v[14:15]
	v_fma_f64 v[86:87], v[86:87], 2.0, -v[16:17]
	;; [unrolled: 1-line block ×8, first 2 shown]
	v_add_f64_e64 v[92:93], v[10:11], -v[20:21]
	v_add_f64_e32 v[94:95], v[12:13], v[18:19]
	v_add_f64_e64 v[18:19], v[14:15], -v[24:25]
	v_add_f64_e32 v[20:21], v[16:17], v[22:23]
	v_fma_f64 v[4:5], v[4:5], 2.0, -v[38:39]
	v_fma_f64 v[6:7], v[6:7], 2.0, -v[40:41]
	;; [unrolled: 1-line block ×8, first 2 shown]
	v_add_f64_e64 v[96:97], v[38:39], -v[48:49]
	v_add_f64_e32 v[98:99], v[40:41], v[42:43]
	v_add_f64_e64 v[34:35], v[50:51], -v[52:53]
	v_add_f64_e32 v[36:37], v[44:45], v[46:47]
	v_fma_f64 v[42:43], v[130:131], 2.0, -v[62:63]
	v_fma_f64 v[46:47], v[132:133], 2.0, -v[68:69]
	;; [unrolled: 1-line block ×6, first 2 shown]
	v_add_f64_e64 v[76:77], v[62:63], -v[76:77]
	v_add_f64_e32 v[70:71], v[68:69], v[70:71]
	v_fma_f64 v[58:59], v[74:75], 2.0, -v[66:67]
	v_fma_f64 v[60:61], v[64:65], 2.0, -v[80:81]
	v_add_f64_e64 v[64:65], v[78:79], -v[80:81]
	v_add_f64_e32 v[66:67], v[72:73], v[66:67]
	v_add_f64_e64 v[8:9], v[86:87], -v[8:9]
	v_add_f64_e64 v[74:75], v[0:1], -v[82:83]
	;; [unrolled: 1-line block ×3, first 2 shown]
	v_fma_f64 v[82:83], v[10:11], 2.0, -v[92:93]
	v_add_f64_e64 v[10:11], v[84:85], -v[88:89]
	v_fma_f64 v[90:91], v[12:13], 2.0, -v[94:95]
	v_fma_f64 v[88:89], v[14:15], 2.0, -v[18:19]
	;; [unrolled: 1-line block ×3, first 2 shown]
	v_add_f64_e64 v[102:103], v[4:5], -v[22:23]
	v_add_f64_e64 v[104:105], v[6:7], -v[24:25]
	s_wait_alu 0xfffe
	v_fma_f64 v[24:25], v[18:19], s[2:3], v[92:93]
	v_add_f64_e64 v[12:13], v[26:27], -v[30:31]
	v_add_f64_e64 v[14:15], v[28:29], -v[32:33]
	v_fma_f64 v[106:107], v[38:39], 2.0, -v[96:97]
	v_fma_f64 v[108:109], v[40:41], 2.0, -v[98:99]
	;; [unrolled: 1-line block ×4, first 2 shown]
	v_fma_f64 v[30:31], v[20:21], s[2:3], v[94:95]
	v_fma_f64 v[32:33], v[34:35], s[2:3], v[96:97]
	v_add_f64_e64 v[110:111], v[42:43], -v[48:49]
	v_add_f64_e64 v[112:113], v[46:47], -v[52:53]
	v_fma_f64 v[50:51], v[36:37], s[2:3], v[98:99]
	v_fma_f64 v[114:115], v[62:63], 2.0, -v[76:77]
	v_fma_f64 v[116:117], v[68:69], 2.0, -v[70:71]
	v_add_f64_e64 v[22:23], v[54:55], -v[58:59]
	v_add_f64_e64 v[16:17], v[56:57], -v[60:61]
	v_fma_f64 v[48:49], v[78:79], 2.0, -v[64:65]
	v_fma_f64 v[44:45], v[72:73], 2.0, -v[66:67]
	v_fma_f64 v[52:53], v[64:65], s[2:3], v[76:77]
	v_fma_f64 v[58:59], v[66:67], s[2:3], v[70:71]
	v_fma_f64 v[62:63], v[86:87], 2.0, -v[8:9]
	v_fma_f64 v[72:73], v[0:1], 2.0, -v[74:75]
	;; [unrolled: 1-line block ×3, first 2 shown]
	v_add_f64_e64 v[0:1], v[74:75], -v[8:9]
	v_fma_f64 v[60:61], v[84:85], 2.0, -v[10:11]
	v_add_f64_e32 v[2:3], v[80:81], v[10:11]
	v_fma_f64 v[68:69], v[88:89], s[0:1], v[82:83]
	v_fma_f64 v[84:85], v[100:101], s[0:1], v[90:91]
	v_fma_f64 v[86:87], v[4:5], 2.0, -v[102:103]
	v_fma_f64 v[118:119], v[6:7], 2.0, -v[104:105]
	v_fma_f64 v[4:5], v[20:21], s[0:1], v[24:25]
	v_fma_f64 v[120:121], v[26:27], 2.0, -v[12:13]
	v_fma_f64 v[122:123], v[28:29], 2.0, -v[14:15]
	v_add_f64_e64 v[8:9], v[102:103], -v[14:15]
	v_add_f64_e32 v[10:11], v[104:105], v[12:13]
	v_fma_f64 v[126:127], v[38:39], s[0:1], v[106:107]
	v_fma_f64 v[130:131], v[40:41], s[0:1], v[108:109]
	;; [unrolled: 1-line block ×4, first 2 shown]
	v_fma_f64 v[132:133], v[42:43], 2.0, -v[110:111]
	v_fma_f64 v[134:135], v[46:47], 2.0, -v[112:113]
	v_fma_f64 v[14:15], v[34:35], s[2:3], v[50:51]
	v_fma_f64 v[42:43], v[54:55], 2.0, -v[22:23]
	v_fma_f64 v[46:47], v[56:57], 2.0, -v[16:17]
	v_fma_f64 v[54:55], v[48:49], s[0:1], v[114:115]
	v_fma_f64 v[56:57], v[44:45], s[0:1], v[116:117]
	v_add_f64_e64 v[16:17], v[110:111], -v[16:17]
	v_add_f64_e32 v[18:19], v[112:113], v[22:23]
	v_fma_f64 v[20:21], v[66:67], s[0:1], v[52:53]
	v_fma_f64 v[22:23], v[64:65], s[2:3], v[58:59]
	v_add_f64_e64 v[26:27], v[78:79], -v[62:63]
	v_add_f64_e64 v[24:25], v[72:73], -v[60:61]
	v_fma_f64 v[50:51], v[80:81], 2.0, -v[2:3]
	v_fma_f64 v[28:29], v[100:101], s[0:1], v[68:69]
	v_fma_f64 v[30:31], v[88:89], s[2:3], v[84:85]
	v_fma_f64 v[52:53], v[92:93], 2.0, -v[4:5]
	v_add_f64_e64 v[32:33], v[86:87], -v[120:121]
	v_add_f64_e64 v[34:35], v[118:119], -v[122:123]
	v_fma_f64 v[58:59], v[104:105], 2.0, -v[10:11]
	v_fma_f64 v[36:37], v[40:41], s[0:1], v[126:127]
	v_fma_f64 v[38:39], v[38:39], s[2:3], v[130:131]
	v_fma_f64 v[60:61], v[96:97], 2.0, -v[12:13]
	v_fma_f64 v[62:63], v[98:99], 2.0, -v[14:15]
	v_add_f64_e64 v[40:41], v[132:133], -v[42:43]
	v_add_f64_e64 v[42:43], v[134:135], -v[46:47]
	v_fma_f64 v[44:45], v[44:45], s[0:1], v[54:55]
	v_fma_f64 v[46:47], v[48:49], s[2:3], v[56:57]
	v_fma_f64 v[48:49], v[74:75], 2.0, -v[0:1]
	v_fma_f64 v[56:57], v[102:103], 2.0, -v[8:9]
	;; [unrolled: 1-line block ×19, first 2 shown]
	ds_store_b128 v125, v[0:3] offset:4896
	ds_store_b128 v125, v[8:11] offset:5168
	;; [unrolled: 1-line block ×18, first 2 shown]
	ds_store_b128 v125, v[72:75]
	ds_store_b128 v125, v[80:83] offset:272
	ds_store_b128 v125, v[76:79] offset:816
	;; [unrolled: 1-line block ×5, first 2 shown]
	global_wb scope:SCOPE_SE
	s_wait_dscnt 0x0
	s_barrier_signal -1
	s_barrier_wait -1
	global_inv scope:SCOPE_SE
	s_and_saveexec_b32 s0, vcc_lo
	s_cbranch_execz .LBB0_20
; %bb.19:
	v_lshl_add_u32 v34, v124, 4, v255
	v_dual_mov_b32 v125, v129 :: v_dual_add_nc_u32 v128, 17, v124
	v_add_co_u32 v36, vcc_lo, s8, v229
	ds_load_b128 v[0:3], v34
	ds_load_b128 v[4:7], v34 offset:272
	v_lshlrev_b64_e32 v[8:9], 4, v[124:125]
	v_lshlrev_b64_e32 v[10:11], 4, v[128:129]
	v_add_nc_u32_e32 v128, 34, v124
	s_wait_alu 0xfffd
	v_add_co_ci_u32_e32 v37, vcc_lo, s9, v230, vcc_lo
	s_delay_alu instid0(VALU_DEP_4) | instskip(NEXT) | instid1(VALU_DEP_3)
	v_add_co_u32 v8, vcc_lo, v36, v8
	v_lshlrev_b64_e32 v[12:13], 4, v[128:129]
	s_wait_alu 0xfffd
	s_delay_alu instid0(VALU_DEP_3)
	v_add_co_ci_u32_e32 v9, vcc_lo, v37, v9, vcc_lo
	v_add_co_u32 v10, vcc_lo, v36, v10
	v_add_nc_u32_e32 v128, 51, v124
	s_wait_alu 0xfffd
	v_add_co_ci_u32_e32 v11, vcc_lo, v37, v11, vcc_lo
	v_add_co_u32 v18, vcc_lo, v36, v12
	s_delay_alu instid0(VALU_DEP_3)
	v_lshlrev_b64_e32 v[16:17], 4, v[128:129]
	s_wait_dscnt 0x1
	global_store_b128 v[8:9], v[0:3], off
	s_wait_dscnt 0x0
	global_store_b128 v[10:11], v[4:7], off
	v_add_nc_u32_e32 v128, 0x44, v124
	s_wait_alu 0xfffd
	v_add_co_ci_u32_e32 v19, vcc_lo, v37, v13, vcc_lo
	ds_load_b128 v[0:3], v34 offset:544
	ds_load_b128 v[4:7], v34 offset:816
	;; [unrolled: 1-line block ×4, first 2 shown]
	v_lshlrev_b64_e32 v[20:21], 4, v[128:129]
	v_add_nc_u32_e32 v128, 0x55, v124
	v_add_co_u32 v16, vcc_lo, v36, v16
	s_wait_alu 0xfffd
	v_add_co_ci_u32_e32 v17, vcc_lo, v37, v17, vcc_lo
	s_delay_alu instid0(VALU_DEP_3) | instskip(SKIP_4) | instid1(VALU_DEP_4)
	v_lshlrev_b64_e32 v[22:23], 4, v[128:129]
	v_add_nc_u32_e32 v128, 0x66, v124
	v_add_co_u32 v20, vcc_lo, v36, v20
	s_wait_alu 0xfffd
	v_add_co_ci_u32_e32 v21, vcc_lo, v37, v21, vcc_lo
	v_add_co_u32 v22, vcc_lo, v36, v22
	v_lshlrev_b64_e32 v[24:25], 4, v[128:129]
	v_add_nc_u32_e32 v128, 0x77, v124
	s_wait_alu 0xfffd
	v_add_co_ci_u32_e32 v23, vcc_lo, v37, v23, vcc_lo
	s_wait_dscnt 0x3
	global_store_b128 v[18:19], v[0:3], off
	s_wait_dscnt 0x2
	global_store_b128 v[16:17], v[4:7], off
	;; [unrolled: 2-line block ×4, first 2 shown]
	v_lshlrev_b64_e32 v[16:17], 4, v[128:129]
	v_add_nc_u32_e32 v128, 0x88, v124
	ds_load_b128 v[0:3], v34 offset:1632
	ds_load_b128 v[4:7], v34 offset:1904
	;; [unrolled: 1-line block ×4, first 2 shown]
	v_add_co_u32 v18, vcc_lo, v36, v24
	v_lshlrev_b64_e32 v[20:21], 4, v[128:129]
	v_add_nc_u32_e32 v128, 0x99, v124
	s_wait_alu 0xfffd
	v_add_co_ci_u32_e32 v19, vcc_lo, v37, v25, vcc_lo
	v_add_co_u32 v16, vcc_lo, v36, v16
	s_delay_alu instid0(VALU_DEP_3)
	v_lshlrev_b64_e32 v[22:23], 4, v[128:129]
	v_add_nc_u32_e32 v128, 0xaa, v124
	s_wait_alu 0xfffd
	v_add_co_ci_u32_e32 v17, vcc_lo, v37, v17, vcc_lo
	v_add_co_u32 v20, vcc_lo, v36, v20
	s_wait_alu 0xfffd
	v_add_co_ci_u32_e32 v21, vcc_lo, v37, v21, vcc_lo
	v_add_co_u32 v22, vcc_lo, v36, v22
	v_lshlrev_b64_e32 v[24:25], 4, v[128:129]
	v_add_nc_u32_e32 v128, 0xbb, v124
	s_wait_alu 0xfffd
	v_add_co_ci_u32_e32 v23, vcc_lo, v37, v23, vcc_lo
	s_wait_dscnt 0x3
	global_store_b128 v[18:19], v[0:3], off
	s_wait_dscnt 0x2
	global_store_b128 v[16:17], v[4:7], off
	;; [unrolled: 2-line block ×4, first 2 shown]
	ds_load_b128 v[0:3], v34 offset:2720
	ds_load_b128 v[4:7], v34 offset:2992
	v_lshlrev_b64_e32 v[16:17], 4, v[128:129]
	v_add_nc_u32_e32 v128, 0xcc, v124
	ds_load_b128 v[8:11], v34 offset:3264
	ds_load_b128 v[12:15], v34 offset:3536
	v_add_co_u32 v18, vcc_lo, v36, v24
	s_wait_alu 0xfffd
	v_add_co_ci_u32_e32 v19, vcc_lo, v37, v25, vcc_lo
	v_lshlrev_b64_e32 v[20:21], 4, v[128:129]
	v_add_nc_u32_e32 v128, 0xdd, v124
	v_add_co_u32 v16, vcc_lo, v36, v16
	s_wait_alu 0xfffd
	v_add_co_ci_u32_e32 v17, vcc_lo, v37, v17, vcc_lo
	s_delay_alu instid0(VALU_DEP_3) | instskip(SKIP_4) | instid1(VALU_DEP_4)
	v_lshlrev_b64_e32 v[22:23], 4, v[128:129]
	v_add_nc_u32_e32 v128, 0xee, v124
	v_add_co_u32 v20, vcc_lo, v36, v20
	s_wait_alu 0xfffd
	v_add_co_ci_u32_e32 v21, vcc_lo, v37, v21, vcc_lo
	v_add_co_u32 v22, vcc_lo, v36, v22
	v_lshlrev_b64_e32 v[24:25], 4, v[128:129]
	v_add_nc_u32_e32 v128, 0xff, v124
	s_wait_alu 0xfffd
	v_add_co_ci_u32_e32 v23, vcc_lo, v37, v23, vcc_lo
	s_wait_dscnt 0x3
	global_store_b128 v[18:19], v[0:3], off
	s_wait_dscnt 0x2
	global_store_b128 v[16:17], v[4:7], off
	;; [unrolled: 2-line block ×4, first 2 shown]
	ds_load_b128 v[0:3], v34 offset:3808
	ds_load_b128 v[4:7], v34 offset:4080
	v_lshlrev_b64_e32 v[16:17], 4, v[128:129]
	v_add_nc_u32_e32 v128, 0x110, v124
	ds_load_b128 v[8:11], v34 offset:4352
	ds_load_b128 v[12:15], v34 offset:4624
	v_add_co_u32 v18, vcc_lo, v36, v24
	s_wait_alu 0xfffd
	v_add_co_ci_u32_e32 v19, vcc_lo, v37, v25, vcc_lo
	v_lshlrev_b64_e32 v[20:21], 4, v[128:129]
	v_add_nc_u32_e32 v128, 0x121, v124
	v_add_co_u32 v16, vcc_lo, v36, v16
	s_wait_alu 0xfffd
	v_add_co_ci_u32_e32 v17, vcc_lo, v37, v17, vcc_lo
	s_delay_alu instid0(VALU_DEP_3) | instskip(SKIP_4) | instid1(VALU_DEP_3)
	v_lshlrev_b64_e32 v[22:23], 4, v[128:129]
	v_add_nc_u32_e32 v128, 0x132, v124
	v_add_co_u32 v20, vcc_lo, v36, v20
	s_wait_alu 0xfffd
	v_add_co_ci_u32_e32 v21, vcc_lo, v37, v21, vcc_lo
	v_lshlrev_b64_e32 v[24:25], 4, v[128:129]
	v_add_nc_u32_e32 v128, 0x143, v124
	v_add_co_u32 v22, vcc_lo, v36, v22
	s_wait_alu 0xfffd
	v_add_co_ci_u32_e32 v23, vcc_lo, v37, v23, vcc_lo
	s_wait_dscnt 0x3
	global_store_b128 v[18:19], v[0:3], off
	s_wait_dscnt 0x2
	global_store_b128 v[16:17], v[4:7], off
	;; [unrolled: 2-line block ×4, first 2 shown]
	v_lshlrev_b64_e32 v[8:9], 4, v[128:129]
	v_add_nc_u32_e32 v128, 0x154, v124
	v_add_co_u32 v24, vcc_lo, v36, v24
	s_wait_alu 0xfffd
	v_add_co_ci_u32_e32 v25, vcc_lo, v37, v25, vcc_lo
	s_delay_alu instid0(VALU_DEP_3) | instskip(SKIP_4) | instid1(VALU_DEP_4)
	v_lshlrev_b64_e32 v[10:11], 4, v[128:129]
	v_add_co_u32 v26, vcc_lo, v36, v8
	v_add_nc_u32_e32 v128, 0x165, v124
	s_wait_alu 0xfffd
	v_add_co_ci_u32_e32 v27, vcc_lo, v37, v9, vcc_lo
	v_add_co_u32 v30, vcc_lo, v36, v10
	ds_load_b128 v[0:3], v34 offset:4896
	ds_load_b128 v[4:7], v34 offset:5168
	s_wait_alu 0xfffd
	v_add_co_ci_u32_e32 v31, vcc_lo, v37, v11, vcc_lo
	ds_load_b128 v[8:11], v34 offset:5440
	ds_load_b128 v[12:15], v34 offset:5712
	;; [unrolled: 1-line block ×4, first 2 shown]
	v_lshlrev_b64_e32 v[28:29], 4, v[128:129]
	v_add_nc_u32_e32 v128, 0x176, v124
	s_delay_alu instid0(VALU_DEP_1) | instskip(SKIP_1) | instid1(VALU_DEP_4)
	v_lshlrev_b64_e32 v[32:33], 4, v[128:129]
	v_add_nc_u32_e32 v128, 0x187, v124
	v_add_co_u32 v28, vcc_lo, v36, v28
	s_wait_alu 0xfffd
	v_add_co_ci_u32_e32 v29, vcc_lo, v37, v29, vcc_lo
	s_delay_alu instid0(VALU_DEP_3) | instskip(SKIP_3) | instid1(VALU_DEP_3)
	v_lshlrev_b64_e32 v[34:35], 4, v[128:129]
	v_add_co_u32 v32, vcc_lo, v36, v32
	s_wait_alu 0xfffd
	v_add_co_ci_u32_e32 v33, vcc_lo, v37, v33, vcc_lo
	v_add_co_u32 v34, vcc_lo, v36, v34
	s_wait_alu 0xfffd
	v_add_co_ci_u32_e32 v35, vcc_lo, v37, v35, vcc_lo
	s_wait_dscnt 0x5
	global_store_b128 v[24:25], v[0:3], off
	s_wait_dscnt 0x4
	global_store_b128 v[26:27], v[4:7], off
	;; [unrolled: 2-line block ×6, first 2 shown]
.LBB0_20:
	s_nop 0
	s_sendmsg sendmsg(MSG_DEALLOC_VGPRS)
	s_endpgm
	.section	.rodata,"a",@progbits
	.p2align	6, 0x0
	.amdhsa_kernel fft_rtc_fwd_len408_factors_17_3_8_wgs_51_tpt_17_halfLds_dp_ip_CI_unitstride_sbrr_C2R_dirReg
		.amdhsa_group_segment_fixed_size 0
		.amdhsa_private_segment_fixed_size 76
		.amdhsa_kernarg_size 88
		.amdhsa_user_sgpr_count 2
		.amdhsa_user_sgpr_dispatch_ptr 0
		.amdhsa_user_sgpr_queue_ptr 0
		.amdhsa_user_sgpr_kernarg_segment_ptr 1
		.amdhsa_user_sgpr_dispatch_id 0
		.amdhsa_user_sgpr_private_segment_size 0
		.amdhsa_wavefront_size32 1
		.amdhsa_uses_dynamic_stack 0
		.amdhsa_enable_private_segment 1
		.amdhsa_system_sgpr_workgroup_id_x 1
		.amdhsa_system_sgpr_workgroup_id_y 0
		.amdhsa_system_sgpr_workgroup_id_z 0
		.amdhsa_system_sgpr_workgroup_info 0
		.amdhsa_system_vgpr_workitem_id 0
		.amdhsa_next_free_vgpr 256
		.amdhsa_next_free_sgpr 56
		.amdhsa_reserve_vcc 1
		.amdhsa_float_round_mode_32 0
		.amdhsa_float_round_mode_16_64 0
		.amdhsa_float_denorm_mode_32 3
		.amdhsa_float_denorm_mode_16_64 3
		.amdhsa_fp16_overflow 0
		.amdhsa_workgroup_processor_mode 1
		.amdhsa_memory_ordered 1
		.amdhsa_forward_progress 0
		.amdhsa_round_robin_scheduling 0
		.amdhsa_exception_fp_ieee_invalid_op 0
		.amdhsa_exception_fp_denorm_src 0
		.amdhsa_exception_fp_ieee_div_zero 0
		.amdhsa_exception_fp_ieee_overflow 0
		.amdhsa_exception_fp_ieee_underflow 0
		.amdhsa_exception_fp_ieee_inexact 0
		.amdhsa_exception_int_div_zero 0
	.end_amdhsa_kernel
	.text
.Lfunc_end0:
	.size	fft_rtc_fwd_len408_factors_17_3_8_wgs_51_tpt_17_halfLds_dp_ip_CI_unitstride_sbrr_C2R_dirReg, .Lfunc_end0-fft_rtc_fwd_len408_factors_17_3_8_wgs_51_tpt_17_halfLds_dp_ip_CI_unitstride_sbrr_C2R_dirReg
                                        ; -- End function
	.section	.AMDGPU.csdata,"",@progbits
; Kernel info:
; codeLenInByte = 20564
; NumSgprs: 58
; NumVgprs: 256
; ScratchSize: 76
; MemoryBound: 0
; FloatMode: 240
; IeeeMode: 1
; LDSByteSize: 0 bytes/workgroup (compile time only)
; SGPRBlocks: 7
; VGPRBlocks: 31
; NumSGPRsForWavesPerEU: 58
; NumVGPRsForWavesPerEU: 256
; Occupancy: 5
; WaveLimiterHint : 1
; COMPUTE_PGM_RSRC2:SCRATCH_EN: 1
; COMPUTE_PGM_RSRC2:USER_SGPR: 2
; COMPUTE_PGM_RSRC2:TRAP_HANDLER: 0
; COMPUTE_PGM_RSRC2:TGID_X_EN: 1
; COMPUTE_PGM_RSRC2:TGID_Y_EN: 0
; COMPUTE_PGM_RSRC2:TGID_Z_EN: 0
; COMPUTE_PGM_RSRC2:TIDIG_COMP_CNT: 0
	.text
	.p2alignl 7, 3214868480
	.fill 96, 4, 3214868480
	.type	__hip_cuid_ad4286a737be5a01,@object ; @__hip_cuid_ad4286a737be5a01
	.section	.bss,"aw",@nobits
	.globl	__hip_cuid_ad4286a737be5a01
__hip_cuid_ad4286a737be5a01:
	.byte	0                               ; 0x0
	.size	__hip_cuid_ad4286a737be5a01, 1

	.ident	"AMD clang version 19.0.0git (https://github.com/RadeonOpenCompute/llvm-project roc-6.4.0 25133 c7fe45cf4b819c5991fe208aaa96edf142730f1d)"
	.section	".note.GNU-stack","",@progbits
	.addrsig
	.addrsig_sym __hip_cuid_ad4286a737be5a01
	.amdgpu_metadata
---
amdhsa.kernels:
  - .args:
      - .actual_access:  read_only
        .address_space:  global
        .offset:         0
        .size:           8
        .value_kind:     global_buffer
      - .offset:         8
        .size:           8
        .value_kind:     by_value
      - .actual_access:  read_only
        .address_space:  global
        .offset:         16
        .size:           8
        .value_kind:     global_buffer
      - .actual_access:  read_only
        .address_space:  global
        .offset:         24
        .size:           8
        .value_kind:     global_buffer
      - .offset:         32
        .size:           8
        .value_kind:     by_value
      - .actual_access:  read_only
        .address_space:  global
        .offset:         40
        .size:           8
        .value_kind:     global_buffer
      - .actual_access:  read_only
        .address_space:  global
        .offset:         48
        .size:           8
        .value_kind:     global_buffer
      - .offset:         56
        .size:           4
        .value_kind:     by_value
      - .actual_access:  read_only
        .address_space:  global
        .offset:         64
        .size:           8
        .value_kind:     global_buffer
      - .actual_access:  read_only
        .address_space:  global
        .offset:         72
        .size:           8
        .value_kind:     global_buffer
      - .address_space:  global
        .offset:         80
        .size:           8
        .value_kind:     global_buffer
    .group_segment_fixed_size: 0
    .kernarg_segment_align: 8
    .kernarg_segment_size: 88
    .language:       OpenCL C
    .language_version:
      - 2
      - 0
    .max_flat_workgroup_size: 51
    .name:           fft_rtc_fwd_len408_factors_17_3_8_wgs_51_tpt_17_halfLds_dp_ip_CI_unitstride_sbrr_C2R_dirReg
    .private_segment_fixed_size: 76
    .sgpr_count:     58
    .sgpr_spill_count: 0
    .symbol:         fft_rtc_fwd_len408_factors_17_3_8_wgs_51_tpt_17_halfLds_dp_ip_CI_unitstride_sbrr_C2R_dirReg.kd
    .uniform_work_group_size: 1
    .uses_dynamic_stack: false
    .vgpr_count:     256
    .vgpr_spill_count: 18
    .wavefront_size: 32
    .workgroup_processor_mode: 1
amdhsa.target:   amdgcn-amd-amdhsa--gfx1201
amdhsa.version:
  - 1
  - 2
...

	.end_amdgpu_metadata
